;; amdgpu-corpus repo=ROCm/rocFFT kind=compiled arch=gfx1201 opt=O3
	.text
	.amdgcn_target "amdgcn-amd-amdhsa--gfx1201"
	.amdhsa_code_object_version 6
	.protected	fft_rtc_back_len2160_factors_10_6_6_6_wgs_60_tpt_60_halfLds_dp_op_CI_CI_unitstride_sbrr_R2C_dirReg ; -- Begin function fft_rtc_back_len2160_factors_10_6_6_6_wgs_60_tpt_60_halfLds_dp_op_CI_CI_unitstride_sbrr_R2C_dirReg
	.globl	fft_rtc_back_len2160_factors_10_6_6_6_wgs_60_tpt_60_halfLds_dp_op_CI_CI_unitstride_sbrr_R2C_dirReg
	.p2align	8
	.type	fft_rtc_back_len2160_factors_10_6_6_6_wgs_60_tpt_60_halfLds_dp_op_CI_CI_unitstride_sbrr_R2C_dirReg,@function
fft_rtc_back_len2160_factors_10_6_6_6_wgs_60_tpt_60_halfLds_dp_op_CI_CI_unitstride_sbrr_R2C_dirReg: ; @fft_rtc_back_len2160_factors_10_6_6_6_wgs_60_tpt_60_halfLds_dp_op_CI_CI_unitstride_sbrr_R2C_dirReg
; %bb.0:
	s_clause 0x2
	s_load_b128 s[8:11], s[0:1], 0x0
	s_load_b128 s[4:7], s[0:1], 0x58
	;; [unrolled: 1-line block ×3, first 2 shown]
	v_mul_u32_u24_e32 v1, 0x445, v0
	v_mov_b32_e32 v3, 0
	s_delay_alu instid0(VALU_DEP_2) | instskip(NEXT) | instid1(VALU_DEP_1)
	v_lshrrev_b32_e32 v1, 16, v1
	v_add_nc_u32_e32 v5, ttmp9, v1
	v_mov_b32_e32 v1, 0
	v_mov_b32_e32 v2, 0
	;; [unrolled: 1-line block ×3, first 2 shown]
	s_wait_kmcnt 0x0
	v_cmp_lt_u64_e64 s2, s[10:11], 2
	s_delay_alu instid0(VALU_DEP_1)
	s_and_b32 vcc_lo, exec_lo, s2
	s_cbranch_vccnz .LBB0_8
; %bb.1:
	s_load_b64 s[2:3], s[0:1], 0x10
	v_mov_b32_e32 v1, 0
	v_mov_b32_e32 v2, 0
	s_add_nc_u64 s[16:17], s[14:15], 8
	s_add_nc_u64 s[18:19], s[12:13], 8
	s_mov_b64 s[20:21], 1
	s_delay_alu instid0(VALU_DEP_1)
	v_dual_mov_b32 v133, v2 :: v_dual_mov_b32 v132, v1
	s_wait_kmcnt 0x0
	s_add_nc_u64 s[22:23], s[2:3], 8
	s_mov_b32 s3, 0
.LBB0_2:                                ; =>This Inner Loop Header: Depth=1
	s_load_b64 s[24:25], s[22:23], 0x0
                                        ; implicit-def: $vgpr134_vgpr135
	s_mov_b32 s2, exec_lo
	s_wait_kmcnt 0x0
	v_or_b32_e32 v4, s25, v6
	s_delay_alu instid0(VALU_DEP_1)
	v_cmpx_ne_u64_e32 0, v[3:4]
	s_wait_alu 0xfffe
	s_xor_b32 s26, exec_lo, s2
	s_cbranch_execz .LBB0_4
; %bb.3:                                ;   in Loop: Header=BB0_2 Depth=1
	s_cvt_f32_u32 s2, s24
	s_cvt_f32_u32 s27, s25
	s_sub_nc_u64 s[30:31], 0, s[24:25]
	s_wait_alu 0xfffe
	s_delay_alu instid0(SALU_CYCLE_1) | instskip(SKIP_1) | instid1(SALU_CYCLE_2)
	s_fmamk_f32 s2, s27, 0x4f800000, s2
	s_wait_alu 0xfffe
	v_s_rcp_f32 s2, s2
	s_delay_alu instid0(TRANS32_DEP_1) | instskip(SKIP_1) | instid1(SALU_CYCLE_2)
	s_mul_f32 s2, s2, 0x5f7ffffc
	s_wait_alu 0xfffe
	s_mul_f32 s27, s2, 0x2f800000
	s_wait_alu 0xfffe
	s_delay_alu instid0(SALU_CYCLE_2) | instskip(SKIP_1) | instid1(SALU_CYCLE_2)
	s_trunc_f32 s27, s27
	s_wait_alu 0xfffe
	s_fmamk_f32 s2, s27, 0xcf800000, s2
	s_cvt_u32_f32 s29, s27
	s_wait_alu 0xfffe
	s_delay_alu instid0(SALU_CYCLE_1) | instskip(SKIP_1) | instid1(SALU_CYCLE_2)
	s_cvt_u32_f32 s28, s2
	s_wait_alu 0xfffe
	s_mul_u64 s[34:35], s[30:31], s[28:29]
	s_wait_alu 0xfffe
	s_mul_hi_u32 s37, s28, s35
	s_mul_i32 s36, s28, s35
	s_mul_hi_u32 s2, s28, s34
	s_mul_i32 s33, s29, s34
	s_wait_alu 0xfffe
	s_add_nc_u64 s[36:37], s[2:3], s[36:37]
	s_mul_hi_u32 s27, s29, s34
	s_mul_hi_u32 s38, s29, s35
	s_add_co_u32 s2, s36, s33
	s_wait_alu 0xfffe
	s_add_co_ci_u32 s2, s37, s27
	s_mul_i32 s34, s29, s35
	s_add_co_ci_u32 s35, s38, 0
	s_wait_alu 0xfffe
	s_add_nc_u64 s[34:35], s[2:3], s[34:35]
	s_wait_alu 0xfffe
	v_add_co_u32 v4, s2, s28, s34
	s_delay_alu instid0(VALU_DEP_1) | instskip(SKIP_1) | instid1(VALU_DEP_1)
	s_cmp_lg_u32 s2, 0
	s_add_co_ci_u32 s29, s29, s35
	v_readfirstlane_b32 s28, v4
	s_wait_alu 0xfffe
	s_delay_alu instid0(VALU_DEP_1)
	s_mul_u64 s[30:31], s[30:31], s[28:29]
	s_wait_alu 0xfffe
	s_mul_hi_u32 s35, s28, s31
	s_mul_i32 s34, s28, s31
	s_mul_hi_u32 s2, s28, s30
	s_mul_i32 s33, s29, s30
	s_wait_alu 0xfffe
	s_add_nc_u64 s[34:35], s[2:3], s[34:35]
	s_mul_hi_u32 s27, s29, s30
	s_mul_hi_u32 s28, s29, s31
	s_wait_alu 0xfffe
	s_add_co_u32 s2, s34, s33
	s_add_co_ci_u32 s2, s35, s27
	s_mul_i32 s30, s29, s31
	s_add_co_ci_u32 s31, s28, 0
	s_wait_alu 0xfffe
	s_add_nc_u64 s[30:31], s[2:3], s[30:31]
	s_wait_alu 0xfffe
	v_add_co_u32 v4, s2, v4, s30
	s_delay_alu instid0(VALU_DEP_1) | instskip(SKIP_1) | instid1(VALU_DEP_1)
	s_cmp_lg_u32 s2, 0
	s_add_co_ci_u32 s2, s29, s31
	v_mul_hi_u32 v13, v5, v4
	s_wait_alu 0xfffe
	v_mad_co_u64_u32 v[7:8], null, v5, s2, 0
	v_mad_co_u64_u32 v[9:10], null, v6, v4, 0
	;; [unrolled: 1-line block ×3, first 2 shown]
	s_delay_alu instid0(VALU_DEP_3) | instskip(SKIP_1) | instid1(VALU_DEP_4)
	v_add_co_u32 v4, vcc_lo, v13, v7
	s_wait_alu 0xfffd
	v_add_co_ci_u32_e32 v7, vcc_lo, 0, v8, vcc_lo
	s_delay_alu instid0(VALU_DEP_2) | instskip(SKIP_1) | instid1(VALU_DEP_2)
	v_add_co_u32 v4, vcc_lo, v4, v9
	s_wait_alu 0xfffd
	v_add_co_ci_u32_e32 v4, vcc_lo, v7, v10, vcc_lo
	s_wait_alu 0xfffd
	v_add_co_ci_u32_e32 v7, vcc_lo, 0, v12, vcc_lo
	s_delay_alu instid0(VALU_DEP_2) | instskip(SKIP_1) | instid1(VALU_DEP_2)
	v_add_co_u32 v4, vcc_lo, v4, v11
	s_wait_alu 0xfffd
	v_add_co_ci_u32_e32 v9, vcc_lo, 0, v7, vcc_lo
	s_delay_alu instid0(VALU_DEP_2) | instskip(SKIP_1) | instid1(VALU_DEP_3)
	v_mul_lo_u32 v10, s25, v4
	v_mad_co_u64_u32 v[7:8], null, s24, v4, 0
	v_mul_lo_u32 v11, s24, v9
	s_delay_alu instid0(VALU_DEP_2) | instskip(NEXT) | instid1(VALU_DEP_2)
	v_sub_co_u32 v7, vcc_lo, v5, v7
	v_add3_u32 v8, v8, v11, v10
	s_delay_alu instid0(VALU_DEP_1) | instskip(SKIP_1) | instid1(VALU_DEP_1)
	v_sub_nc_u32_e32 v10, v6, v8
	s_wait_alu 0xfffd
	v_subrev_co_ci_u32_e64 v10, s2, s25, v10, vcc_lo
	v_add_co_u32 v11, s2, v4, 2
	s_wait_alu 0xf1ff
	v_add_co_ci_u32_e64 v12, s2, 0, v9, s2
	v_sub_co_u32 v13, s2, v7, s24
	v_sub_co_ci_u32_e32 v8, vcc_lo, v6, v8, vcc_lo
	s_wait_alu 0xf1ff
	v_subrev_co_ci_u32_e64 v10, s2, 0, v10, s2
	s_delay_alu instid0(VALU_DEP_3) | instskip(NEXT) | instid1(VALU_DEP_3)
	v_cmp_le_u32_e32 vcc_lo, s24, v13
	v_cmp_eq_u32_e64 s2, s25, v8
	s_wait_alu 0xfffd
	v_cndmask_b32_e64 v13, 0, -1, vcc_lo
	v_cmp_le_u32_e32 vcc_lo, s25, v10
	s_wait_alu 0xfffd
	v_cndmask_b32_e64 v14, 0, -1, vcc_lo
	v_cmp_le_u32_e32 vcc_lo, s24, v7
	;; [unrolled: 3-line block ×3, first 2 shown]
	s_wait_alu 0xfffd
	v_cndmask_b32_e64 v15, 0, -1, vcc_lo
	v_cmp_eq_u32_e32 vcc_lo, s25, v10
	s_wait_alu 0xf1ff
	s_delay_alu instid0(VALU_DEP_2)
	v_cndmask_b32_e64 v7, v15, v7, s2
	s_wait_alu 0xfffd
	v_cndmask_b32_e32 v10, v14, v13, vcc_lo
	v_add_co_u32 v13, vcc_lo, v4, 1
	s_wait_alu 0xfffd
	v_add_co_ci_u32_e32 v14, vcc_lo, 0, v9, vcc_lo
	s_delay_alu instid0(VALU_DEP_3) | instskip(SKIP_1) | instid1(VALU_DEP_2)
	v_cmp_ne_u32_e32 vcc_lo, 0, v10
	s_wait_alu 0xfffd
	v_cndmask_b32_e32 v8, v14, v12, vcc_lo
	v_cndmask_b32_e32 v10, v13, v11, vcc_lo
	v_cmp_ne_u32_e32 vcc_lo, 0, v7
	s_wait_alu 0xfffd
	s_delay_alu instid0(VALU_DEP_2)
	v_dual_cndmask_b32 v135, v9, v8 :: v_dual_cndmask_b32 v134, v4, v10
.LBB0_4:                                ;   in Loop: Header=BB0_2 Depth=1
	s_wait_alu 0xfffe
	s_and_not1_saveexec_b32 s2, s26
	s_cbranch_execz .LBB0_6
; %bb.5:                                ;   in Loop: Header=BB0_2 Depth=1
	v_cvt_f32_u32_e32 v4, s24
	s_sub_co_i32 s26, 0, s24
	v_mov_b32_e32 v135, v3
	s_delay_alu instid0(VALU_DEP_2) | instskip(NEXT) | instid1(TRANS32_DEP_1)
	v_rcp_iflag_f32_e32 v4, v4
	v_mul_f32_e32 v4, 0x4f7ffffe, v4
	s_delay_alu instid0(VALU_DEP_1) | instskip(SKIP_1) | instid1(VALU_DEP_1)
	v_cvt_u32_f32_e32 v4, v4
	s_wait_alu 0xfffe
	v_mul_lo_u32 v7, s26, v4
	s_delay_alu instid0(VALU_DEP_1) | instskip(NEXT) | instid1(VALU_DEP_1)
	v_mul_hi_u32 v7, v4, v7
	v_add_nc_u32_e32 v4, v4, v7
	s_delay_alu instid0(VALU_DEP_1) | instskip(NEXT) | instid1(VALU_DEP_1)
	v_mul_hi_u32 v4, v5, v4
	v_mul_lo_u32 v7, v4, s24
	v_add_nc_u32_e32 v8, 1, v4
	s_delay_alu instid0(VALU_DEP_2) | instskip(NEXT) | instid1(VALU_DEP_1)
	v_sub_nc_u32_e32 v7, v5, v7
	v_subrev_nc_u32_e32 v9, s24, v7
	v_cmp_le_u32_e32 vcc_lo, s24, v7
	s_wait_alu 0xfffd
	s_delay_alu instid0(VALU_DEP_2) | instskip(NEXT) | instid1(VALU_DEP_1)
	v_dual_cndmask_b32 v7, v7, v9 :: v_dual_cndmask_b32 v4, v4, v8
	v_cmp_le_u32_e32 vcc_lo, s24, v7
	s_delay_alu instid0(VALU_DEP_2) | instskip(SKIP_1) | instid1(VALU_DEP_1)
	v_add_nc_u32_e32 v8, 1, v4
	s_wait_alu 0xfffd
	v_cndmask_b32_e32 v134, v4, v8, vcc_lo
.LBB0_6:                                ;   in Loop: Header=BB0_2 Depth=1
	s_wait_alu 0xfffe
	s_or_b32 exec_lo, exec_lo, s2
	v_mul_lo_u32 v4, v135, s24
	s_delay_alu instid0(VALU_DEP_2)
	v_mul_lo_u32 v9, v134, s25
	s_load_b64 s[26:27], s[18:19], 0x0
	v_mad_co_u64_u32 v[7:8], null, v134, s24, 0
	s_load_b64 s[24:25], s[16:17], 0x0
	s_add_nc_u64 s[20:21], s[20:21], 1
	s_add_nc_u64 s[16:17], s[16:17], 8
	s_wait_alu 0xfffe
	v_cmp_ge_u64_e64 s2, s[20:21], s[10:11]
	s_add_nc_u64 s[18:19], s[18:19], 8
	s_add_nc_u64 s[22:23], s[22:23], 8
	v_add3_u32 v4, v8, v9, v4
	v_sub_co_u32 v5, vcc_lo, v5, v7
	s_wait_alu 0xfffd
	s_delay_alu instid0(VALU_DEP_2) | instskip(SKIP_2) | instid1(VALU_DEP_1)
	v_sub_co_ci_u32_e32 v4, vcc_lo, v6, v4, vcc_lo
	s_and_b32 vcc_lo, exec_lo, s2
	s_wait_kmcnt 0x0
	v_mul_lo_u32 v6, s26, v4
	v_mul_lo_u32 v7, s27, v5
	v_mad_co_u64_u32 v[1:2], null, s26, v5, v[1:2]
	v_mul_lo_u32 v4, s24, v4
	v_mul_lo_u32 v8, s25, v5
	v_mad_co_u64_u32 v[132:133], null, s24, v5, v[132:133]
	s_delay_alu instid0(VALU_DEP_4) | instskip(NEXT) | instid1(VALU_DEP_2)
	v_add3_u32 v2, v7, v2, v6
	v_add3_u32 v133, v8, v133, v4
	s_wait_alu 0xfffe
	s_cbranch_vccnz .LBB0_9
; %bb.7:                                ;   in Loop: Header=BB0_2 Depth=1
	v_dual_mov_b32 v5, v134 :: v_dual_mov_b32 v6, v135
	s_branch .LBB0_2
.LBB0_8:
	v_dual_mov_b32 v133, v2 :: v_dual_mov_b32 v132, v1
	v_dual_mov_b32 v135, v6 :: v_dual_mov_b32 v134, v5
.LBB0_9:
	s_load_b64 s[0:1], s[0:1], 0x28
	v_mul_hi_u32 v3, 0x4444445, v0
	s_lshl_b64 s[10:11], s[10:11], 3
                                        ; implicit-def: $vgpr128
                                        ; implicit-def: $vgpr130
                                        ; implicit-def: $vgpr137
                                        ; implicit-def: $vgpr136
	s_wait_kmcnt 0x0
	v_cmp_gt_u64_e32 vcc_lo, s[0:1], v[134:135]
	v_cmp_le_u64_e64 s0, s[0:1], v[134:135]
	s_delay_alu instid0(VALU_DEP_1)
	s_and_saveexec_b32 s1, s0
	s_wait_alu 0xfffe
	s_xor_b32 s0, exec_lo, s1
; %bb.10:
	v_mul_u32_u24_e32 v1, 60, v3
                                        ; implicit-def: $vgpr3
	s_delay_alu instid0(VALU_DEP_1) | instskip(NEXT) | instid1(VALU_DEP_1)
	v_sub_nc_u32_e32 v128, v0, v1
                                        ; implicit-def: $vgpr0
                                        ; implicit-def: $vgpr1_vgpr2
	v_add_nc_u32_e32 v130, 60, v128
	v_add_nc_u32_e32 v137, 0x78, v128
	;; [unrolled: 1-line block ×3, first 2 shown]
; %bb.11:
	s_wait_alu 0xfffe
	s_or_saveexec_b32 s1, s0
	s_add_nc_u64 s[2:3], s[14:15], s[10:11]
	s_wait_alu 0xfffe
	s_xor_b32 exec_lo, exec_lo, s1
	s_cbranch_execz .LBB0_13
; %bb.12:
	s_add_nc_u64 s[10:11], s[12:13], s[10:11]
	v_lshlrev_b64_e32 v[1:2], 4, v[1:2]
	s_load_b64 s[10:11], s[10:11], 0x0
	s_wait_kmcnt 0x0
	v_mul_lo_u32 v6, s11, v134
	v_mul_lo_u32 v7, s10, v135
	v_mad_co_u64_u32 v[4:5], null, s10, v134, 0
	s_delay_alu instid0(VALU_DEP_1) | instskip(SKIP_1) | instid1(VALU_DEP_2)
	v_add3_u32 v5, v5, v7, v6
	v_mul_u32_u24_e32 v6, 60, v3
	v_lshlrev_b64_e32 v[3:4], 4, v[4:5]
	s_delay_alu instid0(VALU_DEP_2) | instskip(NEXT) | instid1(VALU_DEP_1)
	v_sub_nc_u32_e32 v128, v0, v6
	v_lshlrev_b32_e32 v131, 4, v128
	s_delay_alu instid0(VALU_DEP_3) | instskip(SKIP_1) | instid1(VALU_DEP_4)
	v_add_co_u32 v0, s0, s4, v3
	s_wait_alu 0xf1ff
	v_add_co_ci_u32_e64 v3, s0, s5, v4, s0
	v_add_nc_u32_e32 v137, 0x78, v128
	s_delay_alu instid0(VALU_DEP_3) | instskip(SKIP_1) | instid1(VALU_DEP_3)
	v_add_co_u32 v0, s0, v0, v1
	s_wait_alu 0xf1ff
	v_add_co_ci_u32_e64 v1, s0, v3, v2, s0
	v_add_nc_u32_e32 v136, 0xb4, v128
	s_delay_alu instid0(VALU_DEP_3) | instskip(SKIP_1) | instid1(VALU_DEP_3)
	v_add_co_u32 v129, s0, v0, v131
	s_wait_alu 0xf1ff
	v_add_co_ci_u32_e64 v130, s0, 0, v1, s0
	s_clause 0x1f
	global_load_b128 v[0:3], v[129:130], off offset:960
	global_load_b128 v[4:7], v[129:130], off offset:1920
	;; [unrolled: 1-line block ×32, first 2 shown]
	s_clause 0x3
	global_load_b128 v[138:141], v[129:130], off offset:31680
	global_load_b128 v[142:145], v[129:130], off offset:32640
	global_load_b128 v[146:149], v[129:130], off
	global_load_b128 v[150:153], v[129:130], off offset:33600
	v_add_nc_u32_e32 v129, 0, v131
	v_add_nc_u32_e32 v130, 60, v128
	s_wait_loadcnt 0x23
	ds_store_b128 v129, v[0:3] offset:960
	s_wait_loadcnt 0x22
	ds_store_b128 v129, v[4:7] offset:1920
	;; [unrolled: 2-line block ×34, first 2 shown]
	s_wait_loadcnt 0x1
	ds_store_b128 v129, v[146:149]
	s_wait_loadcnt 0x0
	ds_store_b128 v129, v[150:153] offset:33600
.LBB0_13:
	s_or_b32 exec_lo, exec_lo, s1
	v_lshl_add_u32 v204, v128, 4, 0
	s_load_b64 s[2:3], s[2:3], 0x0
	global_wb scope:SCOPE_SE
	s_wait_dscnt 0x0
	s_wait_kmcnt 0x0
	s_barrier_signal -1
	s_barrier_wait -1
	global_inv scope:SCOPE_SE
	ds_load_b128 v[4:7], v204 offset:24192
	ds_load_b128 v[8:11], v204 offset:17280
	;; [unrolled: 1-line block ×9, first 2 shown]
	ds_load_b128 v[76:79], v204
	ds_load_b128 v[68:71], v204 offset:960
	ds_load_b128 v[92:95], v204 offset:6912
	;; [unrolled: 1-line block ×12, first 2 shown]
	s_mov_b32 s10, 0x134454ff
	s_mov_b32 s11, 0xbfee6f0e
	;; [unrolled: 1-line block ×3, first 2 shown]
	s_wait_alu 0xfffe
	s_mov_b32 s4, s10
	s_mov_b32 s18, 0x4755a5e
	;; [unrolled: 1-line block ×6, first 2 shown]
	s_wait_dscnt 0xa
	v_add_f64_e32 v[120:121], v[76:77], v[92:93]
	v_add_f64_e32 v[124:125], v[78:79], v[94:95]
	s_wait_dscnt 0x9
	v_add_f64_e32 v[178:179], v[68:69], v[88:89]
	v_add_f64_e32 v[36:37], v[10:11], v[6:7]
	;; [unrolled: 1-line block ×4, first 2 shown]
	v_add_f64_e64 v[106:107], v[20:21], -v[0:1]
	v_add_f64_e64 v[110:111], v[22:23], -v[2:3]
	;; [unrolled: 1-line block ×3, first 2 shown]
	v_add_f64_e32 v[118:119], v[20:21], v[0:1]
	s_wait_dscnt 0x6
	v_add_f64_e32 v[126:127], v[80:81], v[60:61]
	s_wait_dscnt 0x4
	v_add_f64_e32 v[138:139], v[92:93], v[52:53]
	v_add_f64_e32 v[140:141], v[82:83], v[62:63]
	;; [unrolled: 1-line block ×4, first 2 shown]
	v_add_f64_e64 v[162:163], v[10:11], -v[6:7]
	v_add_f64_e64 v[164:165], v[20:21], -v[8:9]
	;; [unrolled: 1-line block ×6, first 2 shown]
	v_add_f64_e32 v[114:115], v[26:27], v[18:19]
	v_add_f64_e32 v[122:123], v[24:25], v[16:17]
	v_add_f64_e64 v[144:145], v[94:95], -v[54:55]
	v_add_f64_e64 v[158:159], v[80:81], -v[60:61]
	;; [unrolled: 1-line block ×4, first 2 shown]
	v_add_f64_e32 v[184:185], v[70:71], v[90:91]
	v_add_f64_e64 v[186:187], v[88:89], -v[72:73]
	v_add_f64_e64 v[190:191], v[72:73], -v[88:89]
	;; [unrolled: 1-line block ×4, first 2 shown]
	s_wait_dscnt 0x3
	v_add_f64_e64 v[196:197], v[90:91], -v[50:51]
	v_add_f64_e32 v[198:199], v[88:89], v[48:49]
	v_add_f64_e64 v[200:201], v[88:89], -v[48:49]
	v_add_f64_e32 v[88:89], v[90:91], v[50:51]
	s_wait_dscnt 0x2
	v_add_f64_e32 v[90:91], v[64:65], v[28:29]
	v_add_f64_e32 v[202:203], v[66:67], v[30:31]
	;; [unrolled: 1-line block ×4, first 2 shown]
	v_add_f64_e64 v[146:147], v[82:83], -v[62:63]
	v_fma_f64 v[108:109], v[36:37], -0.5, v[86:87]
	v_fma_f64 v[112:113], v[40:41], -0.5, v[84:85]
	;; [unrolled: 1-line block ×3, first 2 shown]
	v_add_f64_e32 v[86:87], v[86:87], v[22:23]
	v_add_f64_e64 v[22:23], v[10:11], -v[22:23]
	s_mov_b32 s13, 0x3fd3c6ef
	v_fma_f64 v[84:85], v[118:119], -0.5, v[84:85]
	v_fma_f64 v[126:127], v[126:127], -0.5, v[76:77]
	;; [unrolled: 1-line block ×5, first 2 shown]
	v_add_f64_e32 v[140:141], v[28:29], v[12:13]
	v_add_f64_e64 v[148:149], v[92:93], -v[80:81]
	v_add_f64_e64 v[150:151], v[52:53], -v[60:61]
	;; [unrolled: 1-line block ×3, first 2 shown]
	v_add_f64_e32 v[164:165], v[164:165], v[168:169]
	v_add_f64_e32 v[166:167], v[166:167], v[172:173]
	v_add_f64_e64 v[92:93], v[92:93], -v[52:53]
	v_add_f64_e64 v[154:155], v[94:95], -v[82:83]
	v_add_f64_e64 v[94:95], v[82:83], -v[94:95]
	v_add_f64_e64 v[180:181], v[28:29], -v[12:13]
	v_fma_f64 v[114:115], v[114:115], -0.5, v[66:67]
	v_add_f64_e64 v[188:189], v[30:31], -v[14:15]
	v_fma_f64 v[122:123], v[122:123], -0.5, v[64:65]
	v_add_f64_e64 v[205:206], v[28:29], -v[24:25]
	v_add_f64_e64 v[207:208], v[24:25], -v[28:29]
	;; [unrolled: 1-line block ×3, first 2 shown]
	v_add_f64_e32 v[80:81], v[120:121], v[80:81]
	v_add_f64_e64 v[120:121], v[12:13], -v[16:17]
	v_add_f64_e32 v[142:143], v[30:31], v[14:15]
	v_add_f64_e64 v[172:173], v[24:25], -v[16:17]
	v_add_f64_e64 v[215:216], v[26:27], -v[30:31]
	;; [unrolled: 1-line block ×3, first 2 shown]
	v_add_f64_e32 v[160:161], v[160:161], v[8:9]
	v_add_f64_e32 v[170:171], v[20:21], v[170:171]
	v_add_f64_e64 v[223:224], v[62:63], -v[54:55]
	v_add_f64_e32 v[24:25], v[90:91], v[24:25]
	v_add_f64_e32 v[26:27], v[202:203], v[26:27]
	s_wait_alu 0xfffe
	v_fma_f64 v[176:177], v[106:107], s[4:5], v[108:109]
	v_fma_f64 v[182:183], v[110:111], s[10:11], v[112:113]
	;; [unrolled: 1-line block ×5, first 2 shown]
	v_add_f64_e32 v[174:175], v[22:23], v[174:175]
	v_fma_f64 v[22:23], v[162:163], s[4:5], v[84:85]
	v_fma_f64 v[202:203], v[209:210], -0.5, v[68:69]
	v_fma_f64 v[198:199], v[198:199], -0.5, v[68:69]
	v_fma_f64 v[209:210], v[213:214], -0.5, v[70:71]
	v_fma_f64 v[213:214], v[88:89], -0.5, v[70:71]
	v_add_f64_e64 v[68:69], v[18:19], -v[14:15]
	v_add_f64_e64 v[70:71], v[48:49], -v[56:57]
	v_fma_f64 v[84:85], v[162:163], s[10:11], v[84:85]
	v_fma_f64 v[140:141], v[140:141], -0.5, v[64:65]
	v_fma_f64 v[64:65], v[110:111], s[4:5], v[112:113]
	v_fma_f64 v[90:91], v[144:145], s[10:11], v[126:127]
	v_add_f64_e64 v[156:157], v[60:61], -v[52:53]
	v_add_f64_e32 v[82:83], v[124:125], v[82:83]
	v_add_f64_e32 v[86:87], v[86:87], v[10:11]
	v_add_f64_e64 v[219:220], v[74:75], -v[58:59]
	v_add_f64_e32 v[178:179], v[178:179], v[72:73]
	v_add_f64_e32 v[74:75], v[184:185], v[74:75]
	v_add_f64_e64 v[124:125], v[14:15], -v[18:19]
	v_fma_f64 v[221:222], v[188:189], s[10:11], v[122:123]
	v_add_f64_e64 v[184:185], v[72:73], -v[56:57]
	v_add_f64_e64 v[72:73], v[54:55], -v[62:63]
	v_add_f64_e32 v[80:81], v[80:81], v[60:61]
	v_add_f64_e32 v[120:121], v[205:206], v[120:121]
	v_fma_f64 v[66:67], v[142:143], -0.5, v[66:67]
	v_fma_f64 v[142:143], v[92:93], s[4:5], v[138:139]
	v_add_f64_e32 v[148:149], v[148:149], v[150:151]
	v_fma_f64 v[138:139], v[92:93], s[10:11], v[138:139]
	v_add_f64_e32 v[160:161], v[160:161], v[4:5]
	;; [unrolled: 2-line block ×3, first 2 shown]
	s_mov_b32 s14, 0x9b97f4a8
	s_mov_b32 s15, 0x3fe9e377
	v_fma_f64 v[176:177], v[116:117], s[16:17], v[176:177]
	v_fma_f64 v[168:169], v[162:163], s[18:19], v[182:183]
	;; [unrolled: 1-line block ×8, first 2 shown]
	ds_load_b128 v[98:101], v204 offset:8832
	ds_load_b128 v[36:39], v204 offset:9792
	ds_load_b128 v[102:105], v204 offset:12288
	ds_load_b128 v[40:43], v204 offset:13248
	ds_load_b128 v[28:31], v204 offset:15744
	ds_load_b128 v[8:11], v204 offset:16704
	v_add_f64_e32 v[205:206], v[215:216], v[68:69]
	v_add_f64_e64 v[150:151], v[56:57], -v[48:49]
	v_fma_f64 v[68:69], v[110:111], s[16:17], v[84:85]
	v_add_f64_e64 v[84:85], v[16:17], -v[12:13]
	s_mov_b32 s21, 0xbfd3c6ef
	v_fma_f64 v[90:91], v[146:147], s[18:19], v[90:91]
	v_add_f64_e32 v[152:153], v[152:153], v[156:157]
	v_add_f64_e32 v[82:83], v[82:83], v[62:63]
	v_add_f64_e32 v[86:87], v[86:87], v[6:7]
	v_add_f64_e64 v[156:157], v[50:51], -v[58:59]
	v_add_f64_e32 v[178:179], v[178:179], v[56:57]
	v_add_f64_e32 v[74:75], v[74:75], v[58:59]
	;; [unrolled: 1-line block ×4, first 2 shown]
	s_mov_b32 s20, s12
	v_add_f64_e32 v[72:73], v[154:155], v[72:73]
	v_add_f64_e32 v[80:81], v[80:81], v[52:53]
	v_add_f64_e64 v[154:155], v[58:59], -v[50:51]
	v_fma_f64 v[215:216], v[172:173], s[10:11], v[66:67]
	v_fma_f64 v[142:143], v[158:159], s[16:17], v[142:143]
	;; [unrolled: 1-line block ×3, first 2 shown]
	s_mov_b32 s23, 0xbfe9e377
	s_mov_b32 s22, s14
	v_fma_f64 v[126:127], v[146:147], s[16:17], v[126:127]
	v_fma_f64 v[122:123], v[188:189], s[4:5], v[122:123]
	v_mul_u32_u24_e32 v129, 10, v128
	s_mov_b32 s1, exec_lo
	v_fma_f64 v[96:97], v[166:167], s[12:13], v[176:177]
	v_fma_f64 v[108:109], v[164:165], s[12:13], v[168:169]
	;; [unrolled: 1-line block ×8, first 2 shown]
	v_add_f64_e32 v[162:163], v[186:187], v[70:71]
	v_fma_f64 v[116:117], v[144:145], s[18:19], v[116:117]
	v_fma_f64 v[76:77], v[144:145], s[16:17], v[76:77]
	;; [unrolled: 1-line block ×4, first 2 shown]
	v_add_f64_e32 v[70:71], v[24:25], v[16:17]
	v_fma_f64 v[106:107], v[166:167], s[12:13], v[106:107]
	ds_load_b128 v[60:63], v204 offset:19200
	ds_load_b128 v[20:23], v204 offset:20160
	v_fma_f64 v[90:91], v[148:149], s[12:13], v[90:91]
	ds_load_b128 v[56:59], v204 offset:22656
	ds_load_b128 v[4:7], v204 offset:23616
	v_fma_f64 v[221:222], v[172:173], s[4:5], v[66:67]
	v_add_f64_e32 v[82:83], v[82:83], v[54:55]
	ds_load_b128 v[52:55], v204 offset:26112
	ds_load_b128 v[24:27], v204 offset:27072
	;; [unrolled: 1-line block ×4, first 2 shown]
	v_add_f64_e32 v[86:87], v[86:87], v[2:3]
	v_add_f64_e32 v[144:145], v[178:179], v[48:49]
	;; [unrolled: 1-line block ×7, first 2 shown]
	v_fma_f64 v[215:216], v[180:181], s[16:17], v[215:216]
	v_fma_f64 v[142:143], v[72:73], s[12:13], v[142:143]
	;; [unrolled: 1-line block ×3, first 2 shown]
	v_add_f64_e32 v[154:155], v[194:195], v[154:155]
	v_lshl_add_u32 v129, v129, 4, 0
	v_fma_f64 v[126:127], v[148:149], s[12:13], v[126:127]
	v_fma_f64 v[122:123], v[217:218], s[16:17], v[122:123]
	s_wait_dscnt 0x5
	v_add_f64_e32 v[223:224], v[30:31], v[58:59]
	v_mul_f64_e32 v[174:175], s[18:19], v[96:97]
	v_mul_f64_e32 v[166:167], s[16:17], v[108:109]
	v_fma_f64 v[168:169], v[92:93], s[16:17], v[168:169]
	v_fma_f64 v[176:177], v[170:171], s[12:13], v[176:177]
	v_mul_f64_e32 v[186:187], s[10:11], v[118:119]
	v_mul_f64_e32 v[118:119], s[12:13], v[118:119]
	v_fma_f64 v[78:79], v[92:93], s[18:19], v[78:79]
	v_fma_f64 v[92:93], v[158:159], s[18:19], v[138:139]
	v_add_f64_e32 v[138:139], v[160:161], v[0:1]
	ds_load_b128 v[48:51], v204 offset:33024
	ds_load_b128 v[0:3], v204 offset:33984
	v_fma_f64 v[116:117], v[152:153], s[12:13], v[116:117]
	v_fma_f64 v[152:153], v[152:153], s[12:13], v[76:77]
	;; [unrolled: 1-line block ×6, first 2 shown]
	v_mul_f64_e32 v[164:165], s[10:11], v[88:89]
	s_wait_alu 0xfffe
	v_mul_f64_e32 v[88:89], s[20:21], v[88:89]
	v_fma_f64 v[221:222], v[180:181], s[18:19], v[221:222]
	s_wait_dscnt 0x5
	v_add_f64_e32 v[225:226], v[60:61], v[52:53]
	v_add_f64_e32 v[148:149], v[62:63], v[54:55]
	v_fma_f64 v[180:181], v[219:220], s[4:5], v[198:199]
	v_add_f64_e64 v[74:75], v[82:83], -v[86:87]
	v_fma_f64 v[198:199], v[219:220], s[10:11], v[198:199]
	v_add_f64_e32 v[158:159], v[44:45], v[98:99]
	v_add_f64_e32 v[170:171], v[46:47], v[100:101]
	s_wait_dscnt 0x3
	v_add_f64_e32 v[190:191], v[98:99], v[64:65]
	v_add_f64_e32 v[194:195], v[100:101], v[66:67]
	s_wait_dscnt 0x1
	v_add_f64_e32 v[231:232], v[104:105], v[50:51]
	v_fma_f64 v[114:115], v[124:125], s[12:13], v[114:115]
	v_fma_f64 v[120:121], v[120:121], s[12:13], v[122:123]
	;; [unrolled: 1-line block ×5, first 2 shown]
	v_mul_f64_e32 v[174:175], s[18:19], v[106:107]
	v_fma_f64 v[178:179], v[176:177], s[12:13], v[186:187]
	v_fma_f64 v[118:119], v[176:177], s[4:5], v[118:119]
	;; [unrolled: 1-line block ×3, first 2 shown]
	ds_load_b128 v[76:79], v204 offset:5376
	v_add_f64_e32 v[186:187], v[70:71], v[12:13]
	ds_load_b128 v[12:15], v204 offset:6336
	v_fma_f64 v[229:230], v[72:73], s[12:13], v[92:93]
	v_add_f64_e32 v[68:69], v[80:81], v[138:139]
	v_add_f64_e64 v[72:73], v[80:81], -v[138:139]
	v_mul_f64_e32 v[211:212], s[16:17], v[182:183]
	v_mul_f64_e32 v[166:167], s[18:19], v[112:113]
	v_add_f64_e32 v[70:71], v[82:83], v[86:87]
	v_fma_f64 v[164:165], v[160:161], s[20:21], v[164:165]
	v_fma_f64 v[160:161], v[160:161], s[4:5], v[88:89]
	v_add_f64_e32 v[138:139], v[102:103], v[48:49]
	v_mul_f64_e32 v[106:107], s[22:23], v[106:107]
	v_add_f64_e32 v[176:177], v[28:29], v[56:57]
	v_fma_f64 v[180:181], v[196:197], s[18:19], v[180:181]
	global_wb scope:SCOPE_SE
	s_wait_dscnt 0x0
	v_fma_f64 v[198:199], v[196:197], s[16:17], v[198:199]
	v_add_f64_e32 v[158:159], v[158:159], v[28:29]
	v_add_f64_e32 v[170:171], v[170:171], v[30:31]
	s_barrier_signal -1
	v_fma_f64 v[148:149], v[148:149], -0.5, v[78:79]
	s_barrier_wait -1
	global_inv scope:SCOPE_SE
	v_add_f64_e32 v[80:81], v[90:91], v[108:109]
	v_add_f64_e64 v[84:85], v[90:91], -v[108:109]
	v_add_f64_e32 v[108:109], v[76:77], v[102:103]
	v_add_f64_e32 v[82:83], v[142:143], v[96:97]
	v_add_f64_e64 v[86:87], v[142:143], -v[96:97]
	v_add_f64_e32 v[90:91], v[168:169], v[118:119]
	v_add_f64_e64 v[94:95], v[168:169], -v[118:119]
	v_add_f64_e32 v[118:119], v[78:79], v[104:105]
	v_add_f64_e32 v[88:89], v[116:117], v[178:179]
	v_add_f64_e64 v[92:93], v[116:117], -v[178:179]
	v_fma_f64 v[116:117], v[205:206], s[12:13], v[221:222]
	v_fma_f64 v[178:179], v[225:226], -0.5, v[76:77]
	v_fma_f64 v[78:79], v[231:232], -0.5, v[78:79]
	v_fma_f64 v[96:97], v[112:113], s[14:15], v[211:212]
	v_fma_f64 v[112:113], v[205:206], s[12:13], v[215:216]
	v_add_f64_e64 v[205:206], v[62:63], -v[54:55]
	v_add_f64_e64 v[211:212], v[102:103], -v[60:61]
	;; [unrolled: 1-line block ×6, first 2 shown]
	v_fma_f64 v[231:232], v[196:197], s[10:11], v[202:203]
	v_fma_f64 v[196:197], v[196:197], s[4:5], v[202:203]
	;; [unrolled: 1-line block ×7, first 2 shown]
	v_fma_f64 v[166:167], v[223:224], -0.5, v[46:47]
	v_fma_f64 v[76:77], v[138:139], -0.5, v[76:77]
	v_add_f64_e64 v[223:224], v[48:49], -v[52:53]
	v_fma_f64 v[142:143], v[176:177], -0.5, v[44:45]
	v_add_f64_e64 v[168:169], v[30:31], -v[58:59]
	v_add_f64_e64 v[176:177], v[98:99], -v[28:29]
	;; [unrolled: 1-line block ×8, first 2 shown]
	v_add_f64_e32 v[108:109], v[108:109], v[60:61]
	v_add_f64_e64 v[60:61], v[60:61], -v[52:53]
	v_fma_f64 v[44:45], v[190:191], -0.5, v[44:45]
	v_fma_f64 v[46:47], v[194:195], -0.5, v[46:47]
	v_add_f64_e64 v[190:191], v[64:65], -v[56:57]
	v_add_f64_e32 v[118:119], v[118:119], v[62:63]
	v_add_f64_e64 v[62:63], v[62:63], -v[104:105]
	v_add_f64_e64 v[104:105], v[104:105], -v[50:51]
	v_add_f64_e32 v[158:159], v[158:159], v[56:57]
	v_add_f64_e64 v[56:57], v[56:57], -v[64:65]
	;; [unrolled: 3-line block ×3, first 2 shown]
	ds_store_b128 v129, v[68:71]
	ds_store_b128 v129, v[80:83] offset:16
	v_mul_i32_i24_e32 v68, 10, v130
	v_fma_f64 v[172:173], v[102:103], s[4:5], v[148:149]
	v_fma_f64 v[196:197], v[219:220], s[16:17], v[196:197]
	;; [unrolled: 1-line block ×5, first 2 shown]
	v_add_f64_e32 v[124:125], v[211:212], v[223:224]
	v_mul_f64_e32 v[211:212], s[10:11], v[116:117]
	v_mul_f64_e32 v[116:117], s[20:21], v[116:117]
	v_add_f64_e32 v[108:109], v[108:109], v[52:53]
	v_add_f64_e64 v[52:53], v[52:53], -v[48:49]
	v_fma_f64 v[122:123], v[182:183], s[10:11], v[46:47]
	v_fma_f64 v[46:47], v[182:183], s[4:5], v[46:47]
	v_add_f64_e32 v[118:119], v[118:119], v[54:55]
	v_add_f64_e64 v[54:55], v[54:55], -v[50:51]
	v_add_f64_e32 v[176:177], v[176:177], v[190:191]
	v_mul_f64_e32 v[190:191], s[10:11], v[112:113]
	v_mul_f64_e32 v[112:113], s[12:13], v[112:113]
	v_add_f64_e32 v[56:57], v[138:139], v[56:57]
	v_mul_f64_e32 v[138:139], s[18:19], v[114:115]
	v_mul_f64_e32 v[114:115], s[22:23], v[114:115]
	v_add_f64_e32 v[194:195], v[28:29], v[194:195]
	v_add_f64_e32 v[58:59], v[30:31], v[58:59]
	;; [unrolled: 1-line block ×4, first 2 shown]
	v_fma_f64 v[172:173], v[60:61], s[16:17], v[172:173]
	v_fma_f64 v[140:141], v[207:208], s[12:13], v[140:141]
	;; [unrolled: 1-line block ×3, first 2 shown]
	v_add_f64_e32 v[52:53], v[215:216], v[52:53]
	v_fma_f64 v[122:123], v[98:99], s[16:17], v[122:123]
	v_add_f64_e32 v[54:55], v[62:63], v[54:55]
	v_fma_f64 v[62:63], v[60:61], s[10:11], v[78:79]
	v_fma_f64 v[78:79], v[60:61], s[4:5], v[78:79]
	;; [unrolled: 1-line block ×16, first 2 shown]
	v_add_f64_e32 v[209:210], v[221:222], v[225:226]
	v_fma_f64 v[78:79], v[205:206], s[4:5], v[76:77]
	v_fma_f64 v[76:77], v[205:206], s[10:11], v[76:77]
	;; [unrolled: 1-line block ×3, first 2 shown]
	v_mul_f64_e32 v[217:218], s[10:11], v[62:63]
	v_mul_f64_e32 v[62:63], s[12:13], v[62:63]
	v_fma_f64 v[102:103], v[205:206], s[18:19], v[102:103]
	v_fma_f64 v[148:149], v[154:155], s[12:13], v[148:149]
	;; [unrolled: 1-line block ×19, first 2 shown]
	v_add_f64_e64 v[46:47], v[227:228], -v[160:161]
	v_fma_f64 v[160:161], v[150:151], s[12:13], v[180:181]
	v_fma_f64 v[150:151], v[150:151], s[12:13], v[198:199]
	;; [unrolled: 1-line block ×3, first 2 shown]
	v_add_f64_e32 v[188:189], v[118:119], v[50:51]
	v_fma_f64 v[118:119], v[162:163], s[12:13], v[196:197]
	v_add_f64_e32 v[140:141], v[158:159], v[64:65]
	v_add_f64_e32 v[158:159], v[170:171], v[66:67]
	;; [unrolled: 1-line block ×3, first 2 shown]
	v_add_f64_e64 v[50:51], v[229:230], -v[106:107]
	v_add_f64_e64 v[48:49], v[126:127], -v[174:175]
	v_fma_f64 v[102:103], v[124:125], s[12:13], v[102:103]
	v_mul_f64_e32 v[213:214], s[18:19], v[172:173]
	v_fma_f64 v[78:79], v[52:53], s[12:13], v[78:79]
	v_fma_f64 v[76:77], v[52:53], s[12:13], v[76:77]
	;; [unrolled: 1-line block ×3, first 2 shown]
	v_mul_f64_e32 v[124:125], s[18:19], v[60:61]
	v_mul_f64_e32 v[60:61], s[22:23], v[60:61]
	v_fma_f64 v[202:203], v[168:169], s[18:19], v[202:203]
	v_fma_f64 v[112:113], v[178:179], s[4:5], v[112:113]
	v_add_f64_e32 v[52:53], v[126:127], v[174:175]
	v_fma_f64 v[200:201], v[182:183], s[16:17], v[200:201]
	v_fma_f64 v[207:208], v[100:101], s[18:19], v[207:208]
	;; [unrolled: 1-line block ×5, first 2 shown]
	v_mul_f64_e32 v[168:169], s[10:11], v[54:55]
	v_mul_f64_e32 v[182:183], s[20:21], v[54:55]
	v_add_f64_e64 v[44:45], v[152:153], -v[164:165]
	v_fma_f64 v[152:153], v[178:179], s[12:13], v[190:191]
	v_fma_f64 v[164:165], v[162:163], s[12:13], v[205:206]
	v_fma_f64 v[178:179], v[156:157], s[12:13], v[209:210]
	v_fma_f64 v[156:157], v[156:157], s[12:13], v[184:185]
	v_add_f64_e32 v[54:55], v[229:230], v[106:107]
	v_add_f64_e32 v[106:107], v[154:155], v[116:117]
	v_add_f64_e64 v[108:109], v[150:151], -v[180:181]
	v_add_f64_e64 v[126:127], v[158:159], -v[188:189]
	ds_store_b128 v129, v[88:91] offset:32
	ds_store_b128 v129, v[28:31] offset:48
	;; [unrolled: 1-line block ×4, first 2 shown]
	v_mul_f64_e32 v[215:216], s[16:17], v[102:103]
	v_fma_f64 v[162:163], v[102:103], s[14:15], v[213:214]
	v_fma_f64 v[184:185], v[176:177], s[12:13], v[202:203]
	;; [unrolled: 1-line block ×15, first 2 shown]
	v_add_f64_e32 v[66:67], v[178:179], v[96:97]
	v_add_f64_e64 v[76:77], v[164:165], -v[110:111]
	v_add_f64_e64 v[78:79], v[178:179], -v[96:97]
	v_add_f64_e32 v[96:97], v[160:161], v[152:153]
	v_add_f64_e32 v[98:99], v[148:149], v[112:113]
	v_add_f64_e64 v[100:101], v[160:161], -v[152:153]
	v_add_f64_e64 v[102:103], v[148:149], -v[112:113]
	v_add_f64_e32 v[104:105], v[150:151], v[180:181]
	v_add_f64_e32 v[64:65], v[164:165], v[110:111]
	v_add_f64_e64 v[110:111], v[154:155], -v[116:117]
	v_add_f64_e32 v[112:113], v[118:119], v[138:139]
	v_add_f64_e32 v[114:115], v[156:157], v[120:121]
	v_add_f64_e64 v[60:61], v[144:145], -v[186:187]
	v_add_f64_e64 v[62:63], v[146:147], -v[192:193]
	;; [unrolled: 1-line block ×4, first 2 shown]
	v_add_f64_e32 v[56:57], v[144:145], v[186:187]
	v_add_f64_e32 v[58:59], v[146:147], v[192:193]
	;; [unrolled: 1-line block ×4, first 2 shown]
	v_add_f64_e64 v[124:125], v[140:141], -v[170:171]
	v_mul_i32_i24_e32 v29, 10, v137
	v_fma_f64 v[172:173], v[172:173], s[14:15], v[215:216]
	v_lshl_add_u32 v28, v68, 4, 0
	v_add_f64_e32 v[138:139], v[184:185], v[162:163]
	v_add_f64_e64 v[142:143], v[184:185], -v[162:163]
	v_lshl_add_u32 v29, v29, 4, 0
	ds_store_b128 v129, v[84:87] offset:96
	ds_store_b128 v129, v[92:95] offset:112
	;; [unrolled: 1-line block ×4, first 2 shown]
	ds_store_b128 v28, v[56:59]
	ds_store_b128 v28, v[64:67] offset:16
	v_add_f64_e32 v[146:147], v[200:201], v[196:197]
	v_add_f64_e32 v[148:149], v[202:203], v[198:199]
	;; [unrolled: 1-line block ×6, first 2 shown]
	v_add_f64_e64 v[158:159], v[200:201], -v[196:197]
	v_add_f64_e64 v[160:161], v[202:203], -v[198:199]
	v_add_f64_e32 v[140:141], v[190:191], v[172:173]
	v_add_f64_e64 v[144:145], v[190:191], -v[172:173]
	v_add_f64_e64 v[162:163], v[205:206], -v[168:169]
	;; [unrolled: 1-line block ×5, first 2 shown]
	ds_store_b128 v28, v[96:99] offset:32
	ds_store_b128 v28, v[104:107] offset:48
	;; [unrolled: 1-line block ×8, first 2 shown]
	ds_store_b128 v29, v[120:123]
	ds_store_b128 v29, v[138:141] offset:16
	ds_store_b128 v29, v[146:149] offset:32
	;; [unrolled: 1-line block ×9, first 2 shown]
	v_cmpx_gt_u32_e32 36, v128
	s_cbranch_execz .LBB0_15
; %bb.14:
	v_add_f64_e32 v[28:29], v[22:23], v[26:27]
	v_add_f64_e32 v[30:31], v[42:43], v[2:3]
	;; [unrolled: 1-line block ×3, first 2 shown]
	v_add_f64_e64 v[46:47], v[40:41], -v[0:1]
	v_add_f64_e32 v[48:49], v[40:41], v[0:1]
	v_add_f64_e64 v[50:51], v[20:21], -v[24:25]
	v_add_f64_e64 v[52:53], v[42:43], -v[2:3]
	v_add_f64_e32 v[54:55], v[10:11], v[6:7]
	v_add_f64_e64 v[56:57], v[42:43], -v[22:23]
	;; [unrolled: 3-line block ×4, first 2 shown]
	v_add_f64_e32 v[74:75], v[36:37], v[16:17]
	v_add_f64_e64 v[76:77], v[40:41], -v[20:21]
	v_add_f64_e64 v[78:79], v[0:1], -v[24:25]
	v_add_f64_e32 v[90:91], v[34:35], v[38:39]
	v_add_f64_e32 v[94:95], v[32:33], v[36:37]
	v_add_f64_e64 v[82:83], v[36:37], -v[16:17]
	v_add_f64_e64 v[84:85], v[8:9], -v[4:5]
	;; [unrolled: 1-line block ×5, first 2 shown]
	v_fma_f64 v[28:29], v[28:29], -0.5, v[14:15]
	v_fma_f64 v[30:31], v[30:31], -0.5, v[14:15]
	;; [unrolled: 1-line block ×3, first 2 shown]
	v_add_f64_e32 v[14:15], v[14:15], v[42:43]
	v_fma_f64 v[48:49], v[48:49], -0.5, v[12:13]
	v_add_f64_e32 v[12:13], v[12:13], v[40:41]
	v_add_f64_e64 v[42:43], v[38:39], -v[18:19]
	v_fma_f64 v[40:41], v[54:55], -0.5, v[34:35]
	v_add_f64_e32 v[54:55], v[56:57], v[58:59]
	v_fma_f64 v[34:35], v[60:61], -0.5, v[34:35]
	v_add_f64_e32 v[56:57], v[62:63], v[64:65]
	v_fma_f64 v[58:59], v[66:67], -0.5, v[32:33]
	v_fma_f64 v[32:33], v[74:75], -0.5, v[32:33]
	v_add_f64_e64 v[74:75], v[36:37], -v[8:9]
	v_add_f64_e64 v[36:37], v[8:9], -v[36:37]
	v_add_f64_e32 v[8:9], v[94:95], v[8:9]
	v_fma_f64 v[70:71], v[46:47], s[10:11], v[28:29]
	v_fma_f64 v[72:73], v[50:51], s[4:5], v[30:31]
	;; [unrolled: 1-line block ×8, first 2 shown]
	v_add_f64_e32 v[14:15], v[14:15], v[22:23]
	v_add_f64_e32 v[12:13], v[12:13], v[20:21]
	v_fma_f64 v[20:21], v[82:83], s[10:11], v[40:41]
	v_fma_f64 v[22:23], v[84:85], s[4:5], v[34:35]
	v_fma_f64 v[34:35], v[84:85], s[10:11], v[34:35]
	v_fma_f64 v[40:41], v[82:83], s[4:5], v[40:41]
	v_fma_f64 v[62:63], v[50:51], s[18:19], v[70:71]
	v_fma_f64 v[64:65], v[46:47], s[18:19], v[72:73]
	v_fma_f64 v[30:31], v[46:47], s[16:17], v[30:31]
	v_add_f64_e32 v[46:47], v[76:77], v[78:79]
	v_fma_f64 v[66:67], v[68:69], s[18:19], v[80:81]
	v_fma_f64 v[28:29], v[50:51], s[16:17], v[28:29]
	v_add_f64_e64 v[50:51], v[38:39], -v[10:11]
	v_add_f64_e64 v[38:39], v[10:11], -v[38:39]
	v_add_f64_e32 v[10:11], v[90:91], v[10:11]
	v_add_f64_e64 v[70:71], v[18:19], -v[6:7]
	v_add_f64_e64 v[72:73], v[6:7], -v[18:19]
	v_add_f64_e64 v[76:77], v[16:17], -v[4:5]
	v_add_f64_e64 v[78:79], v[4:5], -v[16:17]
	v_add_f64_e32 v[80:81], v[86:87], v[88:89]
	v_fma_f64 v[86:87], v[42:43], s[4:5], v[58:59]
	v_fma_f64 v[44:45], v[68:69], s[16:17], v[44:45]
	;; [unrolled: 1-line block ×5, first 2 shown]
	v_add_f64_e32 v[4:5], v[8:9], v[4:5]
	v_add_f64_e32 v[8:9], v[12:13], v[24:25]
	v_fma_f64 v[12:13], v[84:85], s[18:19], v[20:21]
	v_fma_f64 v[20:21], v[82:83], s[16:17], v[34:35]
	;; [unrolled: 1-line block ×9, first 2 shown]
	v_add_f64_e32 v[6:7], v[10:11], v[6:7]
	v_add_f64_e32 v[10:11], v[14:15], v[26:27]
	;; [unrolled: 1-line block ×6, first 2 shown]
	v_fma_f64 v[14:15], v[82:83], s[18:19], v[22:23]
	v_fma_f64 v[22:23], v[84:85], s[16:17], v[40:41]
	;; [unrolled: 1-line block ×6, first 2 shown]
	v_add_f64_e32 v[4:5], v[4:5], v[16:17]
	v_add_f64_e32 v[8:9], v[8:9], v[0:1]
	v_mul_f64_e32 v[44:45], s[22:23], v[52:53]
	v_mul_f64_e32 v[46:47], s[20:21], v[62:63]
	;; [unrolled: 1-line block ×3, first 2 shown]
	v_fma_f64 v[56:57], v[42:43], s[16:17], v[56:57]
	v_fma_f64 v[32:33], v[42:43], s[18:19], v[32:33]
	;; [unrolled: 1-line block ×3, first 2 shown]
	v_mul_f64_e32 v[58:59], s[16:17], v[64:65]
	v_mul_f64_e32 v[60:61], s[18:19], v[28:29]
	;; [unrolled: 1-line block ×5, first 2 shown]
	v_add_f64_e32 v[6:7], v[6:7], v[18:19]
	v_add_f64_e32 v[10:11], v[10:11], v[2:3]
	v_fma_f64 v[12:13], v[50:51], s[12:13], v[12:13]
	v_fma_f64 v[16:17], v[38:39], s[12:13], v[14:15]
	v_fma_f64 v[20:21], v[38:39], s[12:13], v[20:21]
	v_fma_f64 v[38:39], v[50:51], s[12:13], v[22:23]
	v_fma_f64 v[50:51], v[54:55], s[12:13], v[24:25]
	v_add_f64_e64 v[0:1], v[4:5], -v[8:9]
	v_add_f64_e32 v[4:5], v[4:5], v[8:9]
	v_fma_f64 v[22:23], v[26:27], s[16:17], v[44:45]
	v_fma_f64 v[24:25], v[34:35], s[4:5], v[46:47]
	;; [unrolled: 1-line block ×11, first 2 shown]
	v_add_f64_e64 v[2:3], v[6:7], -v[10:11]
	v_add_f64_e32 v[6:7], v[6:7], v[10:11]
	v_add_f64_e64 v[10:11], v[12:13], -v[22:23]
	v_add_f64_e64 v[14:15], v[16:17], -v[24:25]
	v_add_f64_e32 v[30:31], v[20:21], v[44:45]
	v_add_f64_e32 v[26:27], v[16:17], v[24:25]
	v_add_f64_e64 v[18:19], v[20:21], -v[44:45]
	v_add_f64_e32 v[22:23], v[12:13], v[22:23]
	v_add_f64_e32 v[34:35], v[38:39], v[42:43]
	;; [unrolled: 1-line block ×6, first 2 shown]
	v_add_f64_e64 v[38:39], v[38:39], -v[42:43]
	v_add_f64_e64 v[36:37], v[36:37], -v[54:55]
	;; [unrolled: 1-line block ×5, first 2 shown]
	v_mul_i32_i24_e32 v40, 10, v136
	s_delay_alu instid0(VALU_DEP_1)
	v_lshl_add_u32 v40, v40, 4, 0
	ds_store_b128 v40, v[4:7]
	ds_store_b128 v40, v[32:35] offset:16
	ds_store_b128 v40, v[28:31] offset:32
	;; [unrolled: 1-line block ×9, first 2 shown]
.LBB0_15:
	s_or_b32 exec_lo, exec_lo, s1
	v_lshl_add_u32 v129, v136, 4, 0
	v_and_b32_e32 v0, 0xff, v128
	v_and_b32_e32 v212, 0xff, v137
	global_wb scope:SCOPE_SE
	s_wait_dscnt 0x0
	s_barrier_signal -1
	s_barrier_wait -1
	v_mul_lo_u16 v0, 0xcd, v0
	global_inv scope:SCOPE_SE
	v_and_b32_e32 v209, 0xff, v136
	v_add_nc_u32_e32 v208, 0x12c, v128
	v_lshl_add_u32 v207, v130, 4, 0
	v_lshrrev_b16 v219, 11, v0
	s_mov_b32 s4, 0xe8584caa
	s_mov_b32 s5, 0xbfebb67a
	v_and_b32_e32 v211, 0xffff, v208
	s_mov_b32 s11, 0x3febb67a
	v_mul_lo_u16 v0, v219, 10
	s_wait_alu 0xfffe
	s_mov_b32 s10, s4
	s_mov_b32 s1, exec_lo
	s_delay_alu instid0(VALU_DEP_1) | instskip(NEXT) | instid1(VALU_DEP_1)
	v_sub_nc_u16 v0, v128, v0
	v_and_b32_e32 v218, 0xff, v0
	v_and_b32_e32 v0, 0xff, v130
	s_delay_alu instid0(VALU_DEP_2) | instskip(NEXT) | instid1(VALU_DEP_2)
	v_mul_u32_u24_e32 v1, 5, v218
	v_mul_lo_u16 v0, 0xcd, v0
	s_delay_alu instid0(VALU_DEP_2) | instskip(NEXT) | instid1(VALU_DEP_2)
	v_lshlrev_b32_e32 v1, 4, v1
	v_lshrrev_b16 v221, 11, v0
	global_load_b128 v[32:35], v1, s[8:9]
	v_mul_lo_u16 v0, v221, 10
	s_clause 0x3
	global_load_b128 v[36:39], v1, s[8:9] offset:16
	global_load_b128 v[40:43], v1, s[8:9] offset:32
	;; [unrolled: 1-line block ×4, first 2 shown]
	v_sub_nc_u16 v0, v130, v0
	s_delay_alu instid0(VALU_DEP_1) | instskip(SKIP_1) | instid1(VALU_DEP_2)
	v_and_b32_e32 v222, 0xff, v0
	v_mul_lo_u16 v0, 0xcd, v212
	v_mul_u32_u24_e32 v2, 5, v222
	s_delay_alu instid0(VALU_DEP_2) | instskip(NEXT) | instid1(VALU_DEP_2)
	v_lshrrev_b16 v223, 11, v0
	v_lshlrev_b32_e32 v0, 4, v2
	v_mul_lo_u16 v2, 0xcd, v209
	global_load_b128 v[156:159], v0, s[8:9] offset:64
	v_lshrrev_b16 v213, 11, v2
	v_mul_lo_u16 v1, v223, 10
	s_clause 0x3
	global_load_b128 v[52:55], v0, s[8:9]
	global_load_b128 v[60:63], v0, s[8:9] offset:16
	global_load_b128 v[64:67], v0, s[8:9] offset:32
	;; [unrolled: 1-line block ×3, first 2 shown]
	v_mul_lo_u16 v0, v213, 10
	v_sub_nc_u16 v1, v137, v1
	v_add_nc_u32_e32 v2, 0xf0, v128
	s_delay_alu instid0(VALU_DEP_3) | instskip(NEXT) | instid1(VALU_DEP_3)
	v_sub_nc_u16 v0, v136, v0
	v_and_b32_e32 v220, 0xff, v1
	s_delay_alu instid0(VALU_DEP_3) | instskip(NEXT) | instid1(VALU_DEP_3)
	v_and_b32_e32 v210, 0xffff, v2
	v_and_b32_e32 v131, 0xff, v0
	s_delay_alu instid0(VALU_DEP_3) | instskip(NEXT) | instid1(VALU_DEP_2)
	v_mul_u32_u24_e32 v1, 5, v220
	v_mul_u32_u24_e32 v0, 5, v131
	s_delay_alu instid0(VALU_DEP_2) | instskip(NEXT) | instid1(VALU_DEP_2)
	v_lshlrev_b32_e32 v1, 4, v1
	v_lshlrev_b32_e32 v0, 4, v0
	s_clause 0x5
	global_load_b128 v[182:185], v1, s[8:9]
	global_load_b128 v[186:189], v1, s[8:9] offset:16
	global_load_b128 v[194:197], v1, s[8:9] offset:32
	;; [unrolled: 1-line block ×5, first 2 shown]
	v_mul_u32_u24_e32 v1, 0xcccd, v210
	s_clause 0x3
	global_load_b128 v[68:71], v0, s[8:9]
	global_load_b128 v[80:83], v0, s[8:9] offset:16
	global_load_b128 v[88:91], v0, s[8:9] offset:32
	;; [unrolled: 1-line block ×3, first 2 shown]
	v_lshrrev_b32_e32 v214, 19, v1
	v_mul_u32_u24_e32 v0, 0xcccd, v211
	s_delay_alu instid0(VALU_DEP_2) | instskip(NEXT) | instid1(VALU_DEP_2)
	v_mul_lo_u16 v1, v214, 10
	v_lshrrev_b32_e32 v216, 19, v0
	s_delay_alu instid0(VALU_DEP_2) | instskip(NEXT) | instid1(VALU_DEP_2)
	v_sub_nc_u16 v1, v2, v1
	v_mul_lo_u16 v0, v216, 10
	s_delay_alu instid0(VALU_DEP_2) | instskip(NEXT) | instid1(VALU_DEP_2)
	v_and_b32_e32 v215, 0xffff, v1
	v_sub_nc_u16 v0, v208, v0
	s_delay_alu instid0(VALU_DEP_2) | instskip(NEXT) | instid1(VALU_DEP_2)
	v_mul_u32_u24_e32 v1, 5, v215
	v_and_b32_e32 v217, 0xffff, v0
	s_delay_alu instid0(VALU_DEP_2) | instskip(NEXT) | instid1(VALU_DEP_2)
	v_lshlrev_b32_e32 v8, 4, v1
	v_mul_u32_u24_e32 v9, 5, v217
	s_clause 0x1
	global_load_b128 v[96:99], v8, s[8:9]
	global_load_b128 v[56:59], v8, s[8:9] offset:16
	v_lshlrev_b32_e32 v28, 4, v9
	s_clause 0x7
	global_load_b128 v[4:7], v8, s[8:9] offset:32
	global_load_b128 v[0:3], v8, s[8:9] offset:48
	;; [unrolled: 1-line block ×3, first 2 shown]
	global_load_b128 v[24:27], v28, s[8:9]
	global_load_b128 v[20:23], v28, s[8:9] offset:16
	global_load_b128 v[16:19], v28, s[8:9] offset:32
	;; [unrolled: 1-line block ×4, first 2 shown]
	ds_load_b128 v[84:87], v204 offset:5760
	ds_load_b128 v[104:107], v204 offset:11520
	;; [unrolled: 1-line block ×14, first 2 shown]
	s_wait_loadcnt_dscnt 0x1d0d
	v_mul_f64_e32 v[120:121], v[86:87], v[34:35]
	v_mul_f64_e32 v[34:35], v[84:85], v[34:35]
	s_wait_loadcnt_dscnt 0x1c0c
	v_mul_f64_e32 v[124:125], v[106:107], v[38:39]
	s_wait_loadcnt_dscnt 0x1b0b
	v_mul_f64_e32 v[146:147], v[110:111], v[42:43]
	v_mul_f64_e32 v[42:43], v[108:109], v[42:43]
	;; [unrolled: 1-line block ×3, first 2 shown]
	s_wait_loadcnt_dscnt 0x1a0a
	v_mul_f64_e32 v[148:149], v[114:115], v[46:47]
	v_mul_f64_e32 v[46:47], v[112:113], v[46:47]
	s_wait_loadcnt_dscnt 0x1908
	v_mul_f64_e32 v[150:151], v[144:145], v[50:51]
	v_mul_f64_e32 v[50:51], v[142:143], v[50:51]
	;; [unrolled: 3-line block ×3, first 2 shown]
	s_wait_loadcnt 0x17
	v_mul_f64_e32 v[154:155], v[118:119], v[54:55]
	v_mul_f64_e32 v[54:55], v[116:117], v[54:55]
	s_wait_loadcnt 0x15
	v_mul_f64_e32 v[176:177], v[200:201], v[66:67]
	v_mul_f64_e32 v[66:67], v[198:199], v[66:67]
	;; [unrolled: 1-line block ×4, first 2 shown]
	s_wait_loadcnt 0x14
	v_mul_f64_e32 v[192:193], v[230:231], v[78:79]
	v_mul_f64_e32 v[78:79], v[228:229], v[78:79]
	v_fma_f64 v[140:141], v[84:85], v[32:33], v[120:121]
	v_fma_f64 v[138:139], v[86:87], v[32:33], -v[34:35]
	ds_load_b128 v[120:123], v204 offset:8640
	ds_load_b128 v[84:87], v204 offset:14400
	v_fma_f64 v[160:161], v[104:105], v[36:37], v[124:125]
	ds_load_b128 v[124:127], v204 offset:30720
	v_fma_f64 v[170:171], v[108:109], v[40:41], v[146:147]
	v_fma_f64 v[172:173], v[110:111], v[40:41], -v[42:43]
	v_fma_f64 v[164:165], v[106:107], v[36:37], -v[38:39]
	v_fma_f64 v[148:149], v[112:113], v[44:45], v[148:149]
	v_fma_f64 v[146:147], v[114:115], v[44:45], -v[46:47]
	ds_load_b128 v[112:115], v204 offset:31680
	ds_load_b128 v[104:107], v204 offset:20160
	;; [unrolled: 1-line block ×3, first 2 shown]
	v_fma_f64 v[152:153], v[142:143], v[48:49], v[150:151]
	v_fma_f64 v[150:151], v[144:145], v[48:49], -v[50:51]
	s_wait_loadcnt_dscnt 0x1309
	v_mul_f64_e32 v[40:41], v[238:239], v[184:185]
	v_mul_f64_e32 v[42:43], v[236:237], v[184:185]
	s_wait_loadcnt_dscnt 0x1208
	v_mul_f64_e32 v[184:185], v[242:243], v[188:189]
	v_mul_f64_e32 v[188:189], v[240:241], v[188:189]
	;; [unrolled: 3-line block ×4, first 2 shown]
	s_wait_loadcnt_dscnt 0xd05
	v_mul_f64_e32 v[202:203], v[122:123], v[70:71]
	s_wait_dscnt 0x3
	v_mul_f64_e32 v[190:191], v[126:127], v[74:75]
	v_mul_f64_e32 v[74:75], v[124:125], v[74:75]
	;; [unrolled: 1-line block ×3, first 2 shown]
	v_fma_f64 v[144:145], v[116:117], v[52:53], v[154:155]
	v_fma_f64 v[142:143], v[118:119], v[52:53], -v[54:55]
	ds_load_b128 v[116:119], v204 offset:9600
	ds_load_b128 v[32:35], v204 offset:10560
	v_fma_f64 v[180:181], v[200:201], v[64:65], -v[66:67]
	s_wait_loadcnt 0xc
	v_mul_f64_e32 v[200:201], v[86:87], v[82:83]
	v_mul_f64_e32 v[82:83], v[84:85], v[82:83]
	v_fma_f64 v[174:175], v[166:167], v[60:61], v[162:163]
	v_fma_f64 v[178:179], v[168:169], v[60:61], -v[62:63]
	v_fma_f64 v[176:177], v[198:199], v[64:65], v[176:177]
	v_fma_f64 v[166:167], v[228:229], v[76:77], v[192:193]
	v_fma_f64 v[154:155], v[230:231], v[76:77], -v[78:79]
	v_fma_f64 v[168:169], v[232:233], v[156:157], v[205:206]
	v_fma_f64 v[162:163], v[234:235], v[156:157], -v[158:159]
	s_wait_loadcnt_dscnt 0xb03
	v_mul_f64_e32 v[192:193], v[106:107], v[90:91]
	s_wait_loadcnt_dscnt 0xa02
	v_mul_f64_e32 v[198:199], v[108:109], v[94:95]
	ds_load_b128 v[60:63], v204 offset:15360
	ds_load_b128 v[36:39], v204 offset:16320
	v_and_b32_e32 v205, 0xffff, v219
	v_lshlrev_b32_e32 v206, 4, v220
	v_lshl_add_u32 v232, v137, 4, 0
	s_delay_alu instid0(VALU_DEP_3)
	v_mul_u32_u24_e32 v205, 0x3c0, v205
	v_fma_f64 v[158:159], v[236:237], v[182:183], v[40:41]
	v_fma_f64 v[156:157], v[238:239], v[182:183], -v[42:43]
	v_fma_f64 v[182:183], v[240:241], v[186:187], v[184:185]
	v_fma_f64 v[184:185], v[242:243], v[186:187], -v[188:189]
	v_fma_f64 v[186:187], v[244:245], v[194:195], v[252:253]
	v_fma_f64 v[188:189], v[246:247], v[194:195], -v[196:197]
	v_mul_f64_e32 v[194:195], v[104:105], v[90:91]
	v_mul_f64_e32 v[196:197], v[110:111], v[94:95]
	v_fma_f64 v[90:91], v[248:249], v[224:225], v[254:255]
	v_fma_f64 v[94:95], v[250:251], v[224:225], -v[226:227]
	v_mul_f64_e32 v[224:225], v[114:115], v[102:103]
	v_mul_f64_e32 v[226:227], v[112:113], v[102:103]
	s_wait_loadcnt_dscnt 0x903
	v_mul_f64_e32 v[228:229], v[118:119], v[98:99]
	v_mul_f64_e32 v[230:231], v[116:117], v[98:99]
	ds_load_b128 v[44:47], v204 offset:21120
	ds_load_b128 v[40:43], v204 offset:22080
	;; [unrolled: 1-line block ×4, first 2 shown]
	ds_load_b128 v[64:67], v204
	ds_load_b128 v[76:79], v204 offset:33600
	v_fma_f64 v[190:191], v[124:125], v[72:73], v[190:191]
	v_fma_f64 v[124:125], v[126:127], v[72:73], -v[74:75]
	v_fma_f64 v[102:103], v[120:121], v[68:69], v[202:203]
	v_fma_f64 v[98:99], v[122:123], v[68:69], -v[70:71]
	ds_load_b128 v[72:75], v204 offset:3840
	ds_load_b128 v[68:71], v204 offset:4800
	v_fma_f64 v[122:123], v[84:85], v[80:81], v[200:201]
	v_fma_f64 v[120:121], v[86:87], v[80:81], -v[82:83]
	ds_load_b128 v[84:87], v204 offset:32640
	v_and_b32_e32 v126, 0xffff, v221
	v_and_b32_e32 v127, 0xffff, v223
	v_lshlrev_b32_e32 v80, 4, v218
	v_lshlrev_b32_e32 v81, 4, v222
	s_wait_loadcnt_dscnt 0x80a
	v_mul_f64_e32 v[200:201], v[62:63], v[58:59]
	v_mul_u32_u24_e32 v126, 0x3c0, v126
	v_mul_f64_e32 v[202:203], v[60:61], v[58:59]
	v_add3_u32 v219, 0, v205, v80
	v_mul_u32_u24_e32 v205, 0x3c0, v127
	v_fma_f64 v[104:105], v[104:105], v[88:89], v[192:193]
	v_add3_u32 v218, 0, v126, v81
	ds_load_b128 v[80:83], v207
	s_wait_loadcnt_dscnt 0x709
	v_mul_f64_e32 v[126:127], v[44:45], v[6:7]
	s_wait_loadcnt_dscnt 0x607
	v_mul_f64_e32 v[192:193], v[54:55], v[2:3]
	v_mul_lo_u16 v240, 0x89, v212
	v_mov_b32_e32 v255, v129
	v_fma_f64 v[88:89], v[106:107], v[88:89], -v[194:195]
	v_mul_f64_e32 v[106:107], v[46:47], v[6:7]
	v_mul_f64_e32 v[194:195], v[52:53], v[2:3]
	v_fma_f64 v[2:3], v[108:109], v[92:93], v[196:197]
	v_fma_f64 v[6:7], v[110:111], v[92:93], -v[198:199]
	s_wait_loadcnt_dscnt 0x501
	v_mul_f64_e32 v[92:93], v[86:87], v[10:11]
	v_mul_f64_e32 v[108:109], v[84:85], v[10:11]
	s_wait_loadcnt 0x4
	v_mul_f64_e32 v[110:111], v[34:35], v[26:27]
	v_mul_f64_e32 v[196:197], v[32:33], v[26:27]
	v_fma_f64 v[58:59], v[112:113], v[100:101], v[224:225]
	v_fma_f64 v[26:27], v[114:115], v[100:101], -v[226:227]
	s_wait_loadcnt 0x3
	v_mul_f64_e32 v[100:101], v[38:39], v[22:23]
	v_mul_f64_e32 v[22:23], v[36:37], v[22:23]
	s_wait_loadcnt 0x2
	v_mul_f64_e32 v[112:113], v[42:43], v[18:19]
	v_mul_f64_e32 v[114:115], v[40:41], v[18:19]
	v_fma_f64 v[18:19], v[116:117], v[96:97], v[228:229]
	v_fma_f64 v[10:11], v[118:119], v[96:97], -v[230:231]
	s_wait_loadcnt 0x1
	v_mul_f64_e32 v[96:97], v[50:51], v[14:15]
	v_mul_f64_e32 v[14:15], v[48:49], v[14:15]
	s_wait_loadcnt 0x0
	v_mul_f64_e32 v[116:117], v[78:79], v[30:31]
	v_mul_f64_e32 v[30:31], v[76:77], v[30:31]
	v_add3_u32 v118, 0, v205, v206
	v_and_b32_e32 v205, 0xffff, v213
	v_fma_f64 v[220:221], v[60:61], v[56:57], v[200:201]
	v_lshlrev_b32_e32 v206, 4, v131
	v_fma_f64 v[56:57], v[62:63], v[56:57], -v[202:203]
	ds_load_b128 v[60:63], v232
	ds_load_b128 v[198:201], v129
	v_mul_u32_u24_e32 v202, 0x3c0, v205
	v_mul_u32_u24_e32 v203, 0x3c0, v214
	v_lshlrev_b32_e32 v213, 4, v215
	v_mul_u32_u24_e32 v205, 0x3c0, v216
	v_lshlrev_b32_e32 v214, 4, v217
	v_add3_u32 v206, 0, v202, v206
	v_add_f64_e32 v[222:223], v[102:103], v[104:105]
	v_add3_u32 v241, 0, v203, v213
	v_add_f64_e64 v[202:203], v[188:189], -v[124:125]
	v_add_f64_e32 v[212:213], v[156:157], v[188:189]
	v_add_f64_e32 v[188:189], v[188:189], v[124:125]
	;; [unrolled: 1-line block ×3, first 2 shown]
	v_fma_f64 v[44:45], v[44:45], v[4:5], v[106:107]
	v_fma_f64 v[4:5], v[46:47], v[4:5], -v[126:127]
	v_fma_f64 v[46:47], v[52:53], v[0:1], v[192:193]
	v_fma_f64 v[0:1], v[54:55], v[0:1], -v[194:195]
	;; [unrolled: 2-line block ×4, first 2 shown]
	v_add_f64_e32 v[110:111], v[172:173], v[150:151]
	v_add_f64_e32 v[54:55], v[64:65], v[160:161]
	v_fma_f64 v[34:35], v[36:37], v[20:21], v[100:101]
	v_fma_f64 v[20:21], v[38:39], v[20:21], -v[22:23]
	v_fma_f64 v[22:23], v[40:41], v[16:17], v[112:113]
	v_add_f64_e32 v[40:41], v[174:175], v[166:167]
	v_fma_f64 v[16:17], v[42:43], v[16:17], -v[114:115]
	s_wait_dscnt 0x2
	v_add_f64_e32 v[114:115], v[80:81], v[174:175]
	v_fma_f64 v[36:37], v[48:49], v[12:13], v[96:97]
	v_fma_f64 v[12:13], v[50:51], v[12:13], -v[14:15]
	v_fma_f64 v[14:15], v[76:77], v[28:29], v[116:117]
	v_fma_f64 v[28:29], v[78:79], v[28:29], -v[30:31]
	v_add_f64_e32 v[30:31], v[160:161], v[148:149]
	v_add_f64_e32 v[76:77], v[122:123], v[2:3]
	;; [unrolled: 1-line block ×8, first 2 shown]
	v_add_f64_e64 v[116:117], v[178:179], -v[154:155]
	v_add_f64_e32 v[126:127], v[82:83], v[178:179]
	v_add_f64_e32 v[178:179], v[180:181], v[162:163]
	;; [unrolled: 1-line block ×5, first 2 shown]
	v_add_f64_e64 v[84:85], v[164:165], -v[146:147]
	v_add_f64_e64 v[92:93], v[160:161], -v[148:149]
	;; [unrolled: 1-line block ×3, first 2 shown]
	v_add_f64_e32 v[164:165], v[144:145], v[176:177]
	v_add_f64_e32 v[174:175], v[142:143], v[180:181]
	;; [unrolled: 1-line block ×3, first 2 shown]
	v_add3_u32 v205, 0, v205, v214
	s_wait_dscnt 0x0
	v_add_f64_e32 v[214:215], v[198:199], v[122:123]
	v_add_f64_e64 v[106:107], v[172:173], -v[150:151]
	v_add_f64_e64 v[112:113], v[170:171], -v[152:153]
	v_add_f64_e32 v[170:171], v[176:177], v[168:169]
	v_add_f64_e64 v[172:173], v[180:181], -v[162:163]
	v_add_f64_e32 v[180:181], v[60:61], v[182:183]
	v_add_f64_e32 v[194:195], v[158:159], v[186:187]
	v_add_f64_e64 v[192:193], v[184:185], -v[94:95]
	v_add_f64_e32 v[184:185], v[62:63], v[184:185]
	v_fma_f64 v[110:111], v[110:111], -0.5, v[138:139]
	v_fma_f64 v[40:41], v[40:41], -0.5, v[80:81]
	v_add_f64_e32 v[80:81], v[56:57], v[0:1]
	v_add_f64_e32 v[114:115], v[114:115], v[166:167]
	;; [unrolled: 1-line block ×3, first 2 shown]
	v_add_f64_e64 v[176:177], v[176:177], -v[168:169]
	v_add_f64_e32 v[196:197], v[186:187], v[190:191]
	v_add_f64_e32 v[166:167], v[16:17], v[28:29]
	v_fma_f64 v[30:31], v[30:31], -0.5, v[64:65]
	v_add_f64_e32 v[64:65], v[220:221], v[46:47]
	v_fma_f64 v[76:77], v[76:77], -0.5, v[198:199]
	;; [unrolled: 2-line block ×3, first 2 shown]
	v_add_f64_e32 v[140:141], v[32:33], v[22:23]
	v_add_f64_e32 v[216:217], v[200:201], v[120:121]
	;; [unrolled: 1-line block ×3, first 2 shown]
	v_fma_f64 v[38:39], v[38:39], -0.5, v[66:67]
	v_add_f64_e32 v[66:67], v[74:75], v[56:57]
	v_add_f64_e32 v[54:55], v[54:55], v[148:149]
	;; [unrolled: 1-line block ×5, first 2 shown]
	v_fma_f64 v[142:143], v[178:179], -0.5, v[142:143]
	v_add_f64_e64 v[186:187], v[186:187], -v[190:191]
	v_fma_f64 v[156:157], v[188:189], -0.5, v[156:157]
	v_add_f64_e64 v[182:183], v[182:183], -v[90:91]
	v_add_f64_e64 v[88:89], v[88:89], -v[26:27]
	;; [unrolled: 1-line block ×3, first 2 shown]
	v_fma_f64 v[42:43], v[42:43], -0.5, v[82:83]
	v_add_f64_e32 v[82:83], v[18:19], v[44:45]
	v_fma_f64 v[48:49], v[48:49], -0.5, v[60:61]
	v_fma_f64 v[50:51], v[50:51], -0.5, v[62:63]
	v_add_f64_e32 v[62:63], v[10:11], v[4:5]
	v_fma_f64 v[78:79], v[78:79], -0.5, v[200:201]
	v_add_f64_e32 v[200:201], v[68:69], v[34:35]
	v_add_f64_e32 v[148:149], v[34:35], v[36:37]
	;; [unrolled: 1-line block ×4, first 2 shown]
	v_add_f64_e64 v[234:235], v[20:21], -v[12:13]
	v_add_f64_e64 v[236:237], v[34:35], -v[36:37]
	;; [unrolled: 1-line block ×3, first 2 shown]
	v_add_f64_e32 v[16:17], v[126:127], v[154:155]
	v_add_f64_e32 v[20:21], v[164:165], v[168:169]
	;; [unrolled: 1-line block ×4, first 2 shown]
	v_fma_f64 v[26:27], v[228:229], -0.5, v[98:99]
	v_add_f64_e32 v[230:231], v[72:73], v[220:221]
	v_add_f64_e32 v[60:61], v[44:45], v[52:53]
	;; [unrolled: 1-line block ×3, first 2 shown]
	v_add_f64_e64 v[44:45], v[44:45], -v[52:53]
	v_fma_f64 v[64:65], v[64:65], -0.5, v[72:73]
	v_fma_f64 v[72:73], v[80:81], -0.5, v[74:75]
	;; [unrolled: 1-line block ×3, first 2 shown]
	v_add_f64_e64 v[238:239], v[22:23], -v[14:15]
	v_fma_f64 v[24:25], v[166:167], -0.5, v[24:25]
	v_fma_f64 v[22:23], v[170:171], -0.5, v[144:145]
	v_add_f64_e32 v[90:91], v[180:181], v[90:91]
	v_add_f64_e32 v[144:145], v[194:195], v[190:191]
	v_mul_u32_u24_e32 v119, 5, v128
	v_add_f64_e32 v[94:95], v[184:185], v[94:95]
	v_add_f64_e32 v[124:125], v[212:213], v[124:125]
	;; [unrolled: 1-line block ×3, first 2 shown]
	s_wait_alu 0xfffe
	v_fma_f64 v[28:29], v[112:113], s[10:11], v[110:111]
	v_lshlrev_b32_e32 v131, 4, v119
	v_add_f64_e64 v[119:120], v[120:121], -v[6:7]
	v_add_f64_e32 v[98:99], v[140:141], v[14:15]
	v_fma_f64 v[140:141], v[84:85], s[4:5], v[30:31]
	v_fma_f64 v[84:85], v[84:85], s[10:11], v[30:31]
	v_fma_f64 v[30:31], v[112:113], s[4:5], v[110:111]
	v_add_f64_e64 v[122:123], v[122:123], -v[2:3]
	v_add_f64_e64 v[56:57], v[56:57], -v[0:1]
	;; [unrolled: 1-line block ×3, first 2 shown]
	v_fma_f64 v[154:155], v[196:197], -0.5, v[158:159]
	v_add_f64_e32 v[158:159], v[214:215], v[2:3]
	v_add_f64_e32 v[162:163], v[216:217], v[6:7]
	v_fma_f64 v[102:103], v[224:225], -0.5, v[102:103]
	v_add_f64_e32 v[66:67], v[66:67], v[0:1]
	v_add_f64_e32 v[0:1], v[54:55], v[96:97]
	;; [unrolled: 1-line block ×3, first 2 shown]
	v_add_f64_e64 v[4:5], v[54:55], -v[96:97]
	v_add_f64_e64 v[6:7], v[86:87], -v[108:109]
	v_fma_f64 v[86:87], v[116:117], s[4:5], v[40:41]
	v_fma_f64 v[96:97], v[116:117], s[10:11], v[40:41]
	;; [unrolled: 1-line block ×4, first 2 shown]
	v_add_f64_e32 v[58:59], v[222:223], v[58:59]
	v_fma_f64 v[110:111], v[186:187], s[10:11], v[156:157]
	v_fma_f64 v[112:113], v[186:187], s[4:5], v[156:157]
	v_add_f64_e32 v[52:53], v[82:83], v[52:53]
	v_add_f64_e32 v[62:63], v[62:63], v[8:9]
	;; [unrolled: 1-line block ×5, first 2 shown]
	v_add_f64_e64 v[12:13], v[114:115], -v[20:21]
	v_add_f64_e64 v[14:15], v[16:17], -v[126:127]
	v_fma_f64 v[114:115], v[192:193], s[4:5], v[48:49]
	v_fma_f64 v[116:117], v[192:193], s[10:11], v[48:49]
	;; [unrolled: 1-line block ×6, first 2 shown]
	v_fma_f64 v[60:61], v[60:61], -0.5, v[18:19]
	v_fma_f64 v[32:33], v[150:151], -0.5, v[32:33]
	v_fma_f64 v[150:151], v[44:45], s[10:11], v[74:75]
	v_fma_f64 v[44:45], v[44:45], s[4:5], v[74:75]
	;; [unrolled: 1-line block ×3, first 2 shown]
	v_add_f64_e32 v[16:17], v[90:91], v[144:145]
	v_add_f64_e64 v[20:21], v[90:91], -v[144:145]
	v_fma_f64 v[90:91], v[238:239], s[4:5], v[24:25]
	v_add_f64_e32 v[80:81], v[200:201], v[36:37]
	v_fma_f64 v[146:147], v[92:93], s[10:11], v[38:39]
	v_fma_f64 v[92:93], v[92:93], s[4:5], v[38:39]
	;; [unrolled: 1-line block ×8, first 2 shown]
	v_add_f64_e32 v[18:19], v[94:95], v[124:125]
	v_add_f64_e64 v[22:23], v[94:95], -v[124:125]
	v_fma_f64 v[124:125], v[119:120], s[4:5], v[76:77]
	v_fma_f64 v[119:120], v[119:120], s[10:11], v[76:77]
	v_mul_f64_e32 v[76:77], s[4:5], v[28:29]
	v_mul_f64_e32 v[144:145], 0.5, v[28:29]
	v_fma_f64 v[70:71], v[152:153], -0.5, v[70:71]
	v_mul_f64_e32 v[94:95], s[4:5], v[30:31]
	v_mul_f64_e32 v[152:153], -0.5, v[30:31]
	v_add_f64_e64 v[220:221], v[220:221], -v[46:47]
	v_fma_f64 v[68:69], v[148:149], -0.5, v[68:69]
	v_fma_f64 v[104:105], v[202:203], s[4:5], v[154:155]
	v_fma_f64 v[148:149], v[202:203], s[10:11], v[154:155]
	;; [unrolled: 1-line block ×6, first 2 shown]
	v_mul_f64_e32 v[102:103], s[4:5], v[40:41]
	v_mul_f64_e32 v[156:157], s[4:5], v[54:55]
	v_mul_f64_e32 v[40:41], 0.5, v[40:41]
	v_mul_f64_e32 v[54:55], -0.5, v[54:55]
	v_add_f64_e32 v[24:25], v[158:159], v[58:59]
	v_add_f64_e64 v[28:29], v[158:159], -v[58:59]
	v_mul_f64_e32 v[58:59], s[4:5], v[110:111]
	v_mul_f64_e32 v[110:111], 0.5, v[110:111]
	v_mul_f64_e32 v[158:159], s[4:5], v[112:113]
	v_mul_f64_e32 v[112:113], -0.5, v[112:113]
	v_add_f64_e32 v[26:27], v[162:163], v[164:165]
	v_add_f64_e64 v[30:31], v[162:163], -v[164:165]
	v_fma_f64 v[160:161], v[56:57], s[4:5], v[64:65]
	v_fma_f64 v[162:163], v[56:57], s[10:11], v[64:65]
	v_mul_f64_e32 v[64:65], s[4:5], v[48:49]
	v_mul_f64_e32 v[164:165], s[4:5], v[50:51]
	v_mul_f64_e32 v[48:49], 0.5, v[48:49]
	v_mul_f64_e32 v[50:51], -0.5, v[50:51]
	v_add_f64_e32 v[46:47], v[230:231], v[46:47]
	v_fma_f64 v[56:57], v[232:233], s[4:5], v[60:61]
	v_mul_f64_e32 v[170:171], s[4:5], v[150:151]
	v_mul_f64_e32 v[150:151], 0.5, v[150:151]
	v_fma_f64 v[60:61], v[232:233], s[10:11], v[60:61]
	v_mul_f64_e32 v[172:173], s[4:5], v[44:45]
	v_mul_f64_e32 v[174:175], -0.5, v[44:45]
	v_fma_f64 v[166:167], v[34:35], s[4:5], v[32:33]
	v_mul_f64_e32 v[176:177], s[4:5], v[74:75]
	v_mul_f64_e32 v[74:75], 0.5, v[74:75]
	v_fma_f64 v[168:169], v[34:35], s[10:11], v[32:33]
	v_mul_f64_e32 v[178:179], s[4:5], v[90:91]
	v_mul_f64_e32 v[90:91], -0.5, v[90:91]
	v_fma_f64 v[76:77], v[36:37], 0.5, v[76:77]
	v_fma_f64 v[144:145], v[36:37], s[10:11], v[144:145]
	v_fma_f64 v[94:95], v[38:39], -0.5, v[94:95]
	v_fma_f64 v[152:153], v[38:39], s[10:11], v[152:153]
	v_fma_f64 v[180:181], v[220:221], s[10:11], v[72:73]
	v_fma_f64 v[182:183], v[220:221], s[4:5], v[72:73]
	v_fma_f64 v[184:185], v[234:235], s[4:5], v[68:69]
	v_fma_f64 v[72:73], v[42:43], 0.5, v[102:103]
	v_fma_f64 v[102:103], v[108:109], -0.5, v[156:157]
	v_fma_f64 v[156:157], v[42:43], s[10:11], v[40:41]
	v_fma_f64 v[108:109], v[108:109], s[10:11], v[54:55]
	v_add_f64_e32 v[42:43], v[82:83], v[138:139]
	v_fma_f64 v[190:191], v[236:237], s[10:11], v[70:71]
	v_fma_f64 v[188:189], v[104:105], 0.5, v[58:59]
	v_fma_f64 v[104:105], v[104:105], s[10:11], v[110:111]
	v_fma_f64 v[158:159], v[148:149], -0.5, v[158:159]
	v_fma_f64 v[110:111], v[148:149], s[10:11], v[112:113]
	v_fma_f64 v[186:187], v[234:235], s[10:11], v[68:69]
	;; [unrolled: 1-line block ×3, first 2 shown]
	v_add_f64_e32 v[34:35], v[66:67], v[62:63]
	v_add_f64_e64 v[38:39], v[66:67], -v[62:63]
	v_fma_f64 v[112:113], v[78:79], 0.5, v[64:65]
	v_fma_f64 v[148:149], v[88:89], -0.5, v[164:165]
	v_fma_f64 v[164:165], v[78:79], s[10:11], v[48:49]
	v_fma_f64 v[194:195], v[88:89], s[10:11], v[50:51]
	v_add_f64_e32 v[32:33], v[46:47], v[52:53]
	v_add_f64_e64 v[36:37], v[46:47], -v[52:53]
	v_add_f64_e64 v[46:47], v[82:83], -v[138:139]
	v_fma_f64 v[138:139], v[56:57], 0.5, v[170:171]
	v_fma_f64 v[150:151], v[56:57], s[10:11], v[150:151]
	v_fma_f64 v[170:171], v[60:61], -0.5, v[172:173]
	v_fma_f64 v[172:173], v[60:61], s[10:11], v[174:175]
	v_add_f64_e32 v[40:41], v[80:81], v[98:99]
	v_fma_f64 v[174:175], v[166:167], 0.5, v[176:177]
	v_fma_f64 v[166:167], v[166:167], s[10:11], v[74:75]
	v_add_f64_e64 v[44:45], v[80:81], -v[98:99]
	v_fma_f64 v[176:177], v[168:169], -0.5, v[178:179]
	v_fma_f64 v[168:169], v[168:169], s[10:11], v[90:91]
	v_add_f64_e32 v[48:49], v[140:141], v[76:77]
	v_add_f64_e32 v[50:51], v[146:147], v[144:145]
	v_add_f64_e32 v[52:53], v[84:85], v[94:95]
	v_add_f64_e32 v[54:55], v[92:93], v[152:153]
	v_add_f64_e64 v[56:57], v[140:141], -v[76:77]
	v_add_f64_e64 v[58:59], v[146:147], -v[144:145]
	v_add_f64_e64 v[60:61], v[84:85], -v[94:95]
	v_add_f64_e64 v[62:63], v[92:93], -v[152:153]
	v_add_f64_e32 v[64:65], v[86:87], v[72:73]
	v_add_f64_e32 v[66:67], v[100:101], v[156:157]
	v_add_f64_e32 v[68:69], v[96:97], v[102:103]
	v_add_f64_e32 v[70:71], v[106:107], v[108:109]
	v_add_f64_e64 v[72:73], v[86:87], -v[72:73]
	v_add_f64_e64 v[74:75], v[100:101], -v[156:157]
	v_add_f64_e64 v[76:77], v[96:97], -v[102:103]
	v_add_f64_e64 v[78:79], v[106:107], -v[108:109]
	;; [unrolled: 8-line block ×6, first 2 shown]
	global_wb scope:SCOPE_SE
	s_barrier_signal -1
	s_barrier_wait -1
	global_inv scope:SCOPE_SE
	ds_store_b128 v219, v[0:3]
	ds_store_b128 v219, v[48:51] offset:160
	ds_store_b128 v219, v[52:55] offset:320
	ds_store_b128 v219, v[4:7] offset:480
	ds_store_b128 v219, v[56:59] offset:640
	ds_store_b128 v219, v[60:63] offset:800
	ds_store_b128 v218, v[8:11]
	ds_store_b128 v218, v[64:67] offset:160
	ds_store_b128 v218, v[68:71] offset:320
	ds_store_b128 v218, v[12:15] offset:480
	ds_store_b128 v218, v[72:75] offset:640
	ds_store_b128 v218, v[76:79] offset:800
	;; [unrolled: 6-line block ×6, first 2 shown]
	v_lshrrev_b16 v0, 13, v240
	global_wb scope:SCOPE_SE
	s_wait_dscnt 0x0
	s_barrier_signal -1
	s_barrier_wait -1
	global_inv scope:SCOPE_SE
	v_mul_lo_u16 v0, v0, 60
	s_clause 0x4
	global_load_b128 v[44:47], v131, s[8:9] offset:800
	global_load_b128 v[48:51], v131, s[8:9] offset:816
	;; [unrolled: 1-line block ×5, first 2 shown]
	v_sub_nc_u16 v0, v137, v0
	v_mul_lo_u16 v1, 0x89, v209
	v_mul_u32_u24_e32 v2, 0x8889, v211
	v_add_nc_u32_e32 v129, 0xf0, v128
	s_delay_alu instid0(VALU_DEP_4) | instskip(NEXT) | instid1(VALU_DEP_4)
	v_and_b32_e32 v212, 0xff, v0
	v_lshrrev_b16 v1, 13, v1
	s_delay_alu instid0(VALU_DEP_4) | instskip(NEXT) | instid1(VALU_DEP_3)
	v_lshrrev_b32_e32 v2, 21, v2
	v_mul_u32_u24_e32 v0, 5, v212
	s_delay_alu instid0(VALU_DEP_3) | instskip(SKIP_1) | instid1(VALU_DEP_3)
	v_mul_lo_u16 v1, v1, 60
	v_lshl_add_u32 v211, v212, 4, 0
	v_lshlrev_b32_e32 v0, 4, v0
	s_delay_alu instid0(VALU_DEP_3)
	v_sub_nc_u16 v1, v136, v1
	global_load_b128 v[68:71], v0, s[8:9] offset:800
	v_and_b32_e32 v209, 0xff, v1
	s_clause 0x3
	global_load_b128 v[76:79], v0, s[8:9] offset:816
	global_load_b128 v[80:83], v0, s[8:9] offset:832
	;; [unrolled: 1-line block ×4, first 2 shown]
	v_mul_u32_u24_e32 v0, 0x8889, v210
	v_mul_u32_u24_e32 v1, 5, v209
	s_delay_alu instid0(VALU_DEP_2) | instskip(NEXT) | instid1(VALU_DEP_2)
	v_lshrrev_b32_e32 v0, 21, v0
	v_lshlrev_b32_e32 v1, 4, v1
	s_delay_alu instid0(VALU_DEP_2)
	v_mul_lo_u16 v0, v0, 60
	s_clause 0x3
	global_load_b128 v[174:177], v1, s[8:9] offset:800
	global_load_b128 v[182:185], v1, s[8:9] offset:816
	;; [unrolled: 1-line block ×4, first 2 shown]
	v_sub_nc_u16 v0, v129, v0
	global_load_b128 v[40:43], v1, s[8:9] offset:864
	v_and_b32_e32 v210, 0xffff, v0
	v_mul_lo_u16 v0, v2, 60
	s_delay_alu instid0(VALU_DEP_2) | instskip(NEXT) | instid1(VALU_DEP_2)
	v_mul_u32_u24_e32 v2, 5, v210
	v_sub_nc_u16 v0, v208, v0
	v_lshl_add_u32 v210, v210, 4, 0
	s_delay_alu instid0(VALU_DEP_3) | instskip(NEXT) | instid1(VALU_DEP_3)
	v_lshlrev_b32_e32 v8, 4, v2
	v_and_b32_e32 v208, 0xffff, v0
	s_clause 0x1
	global_load_b128 v[36:39], v8, s[8:9] offset:800
	global_load_b128 v[4:7], v8, s[8:9] offset:816
	v_mul_u32_u24_e32 v9, 5, v208
	s_clause 0x1
	global_load_b128 v[12:15], v8, s[8:9] offset:832
	global_load_b128 v[0:3], v8, s[8:9] offset:848
	v_lshlrev_b32_e32 v32, 4, v9
	s_clause 0x5
	global_load_b128 v[8:11], v8, s[8:9] offset:864
	global_load_b128 v[28:31], v32, s[8:9] offset:800
	;; [unrolled: 1-line block ×6, first 2 shown]
	ds_load_b128 v[64:67], v204 offset:5760
	ds_load_b128 v[72:75], v204 offset:6720
	;; [unrolled: 1-line block ×19, first 2 shown]
	s_wait_loadcnt_dscnt 0x1812
	v_mul_f64_e32 v[88:89], v[66:67], v[46:47]
	v_mul_f64_e32 v[90:91], v[64:65], v[46:47]
	s_wait_loadcnt_dscnt 0x160e
	v_mul_f64_e32 v[138:139], v[104:105], v[54:55]
	v_mul_f64_e32 v[118:119], v[84:85], v[50:51]
	;; [unrolled: 3-line block ×3, first 2 shown]
	v_mul_f64_e32 v[172:173], v[112:113], v[58:59]
	v_mul_f64_e32 v[239:240], v[160:161], v[62:63]
	s_wait_dscnt 0x9
	v_mul_f64_e32 v[241:242], v[170:171], v[62:63]
	v_mul_f64_e32 v[96:97], v[74:75], v[46:47]
	;; [unrolled: 1-line block ×12, first 2 shown]
	s_wait_loadcnt_dscnt 0x1308
	v_mul_f64_e32 v[243:244], v[180:181], v[70:71]
	v_mul_f64_e32 v[70:71], v[178:179], v[70:71]
	s_wait_loadcnt_dscnt 0x1206
	v_mul_f64_e32 v[245:246], v[200:201], v[78:79]
	v_mul_f64_e32 v[78:79], v[198:199], v[78:79]
	s_wait_loadcnt_dscnt 0x1104
	v_mul_f64_e32 v[247:248], v[219:220], v[82:83]
	v_mul_f64_e32 v[82:83], v[217:218], v[82:83]
	s_wait_loadcnt_dscnt 0x1002
	v_mul_f64_e32 v[249:250], v[227:228], v[154:155]
	v_mul_f64_e32 v[154:155], v[225:226], v[154:155]
	v_fma_f64 v[102:103], v[64:65], v[44:45], v[88:89]
	v_fma_f64 v[100:101], v[66:67], v[44:45], -v[90:91]
	ds_load_b128 v[88:91], v204 offset:31680
	v_fma_f64 v[142:143], v[106:107], v[52:53], -v[138:139]
	s_wait_loadcnt_dscnt 0xf01
	v_mul_f64_e32 v[251:252], v[235:236], v[166:167]
	v_mul_f64_e32 v[166:167], v[233:234], v[166:167]
	s_wait_loadcnt 0xe
	v_mul_f64_e32 v[253:254], v[188:189], v[176:177]
	v_mul_f64_e32 v[176:177], v[186:187], v[176:177]
	s_wait_loadcnt 0xd
	v_mul_f64_e32 v[205:206], v[215:216], v[184:185]
	v_fma_f64 v[138:139], v[160:161], v[60:61], v[237:238]
	v_mul_f64_e32 v[184:185], v[213:214], v[184:185]
	s_wait_loadcnt 0xc
	v_mul_f64_e32 v[237:238], v[223:224], v[192:193]
	v_mul_f64_e32 v[192:193], v[221:222], v[192:193]
	v_fma_f64 v[144:145], v[86:87], v[48:49], -v[118:119]
	v_fma_f64 v[140:141], v[104:105], v[52:53], v[124:125]
	v_fma_f64 v[118:119], v[114:115], v[56:57], -v[172:173]
	v_fma_f64 v[124:125], v[162:163], v[60:61], -v[239:240]
	v_fma_f64 v[114:115], v[168:169], v[60:61], v[241:242]
	s_wait_loadcnt 0xb
	v_mul_f64_e32 v[239:240], v[231:232], v[196:197]
	v_mul_f64_e32 v[241:242], v[229:230], v[196:197]
	v_fma_f64 v[96:97], v[72:73], v[44:45], v[96:97]
	v_fma_f64 v[98:99], v[74:75], v[44:45], -v[46:47]
	v_fma_f64 v[126:127], v[84:85], v[48:49], v[116:117]
	v_fma_f64 v[116:117], v[92:93], v[48:49], v[120:121]
	v_fma_f64 v[122:123], v[94:95], v[48:49], -v[50:51]
	ds_load_b128 v[92:95], v204 offset:9600
	ds_load_b128 v[44:47], v204 offset:10560
	v_fma_f64 v[146:147], v[108:109], v[52:53], v[146:147]
	v_fma_f64 v[148:149], v[110:111], v[52:53], -v[54:55]
	ds_load_b128 v[48:51], v204 offset:32640
	ds_load_b128 v[64:67], v204 offset:15360
	;; [unrolled: 1-line block ×3, first 2 shown]
	v_fma_f64 v[110:111], v[178:179], v[68:69], v[243:244]
	v_fma_f64 v[108:109], v[180:181], v[68:69], -v[70:71]
	ds_load_b128 v[72:75], v204 offset:21120
	ds_load_b128 v[68:71], v204 offset:22080
	v_fma_f64 v[104:105], v[156:157], v[56:57], v[202:203]
	v_fma_f64 v[106:107], v[158:159], v[56:57], -v[58:59]
	v_fma_f64 v[156:157], v[198:199], v[76:77], v[245:246]
	v_fma_f64 v[158:159], v[200:201], v[76:77], -v[78:79]
	ds_load_b128 v[84:87], v204 offset:26880
	ds_load_b128 v[76:79], v204 offset:27840
	v_fma_f64 v[120:121], v[112:113], v[56:57], v[150:151]
	v_fma_f64 v[112:113], v[170:171], v[60:61], -v[62:63]
	v_fma_f64 v[160:161], v[217:218], v[80:81], v[247:248]
	v_fma_f64 v[162:163], v[219:220], v[80:81], -v[82:83]
	ds_load_b128 v[80:83], v204 offset:33600
	ds_load_b128 v[60:63], v204
	s_wait_loadcnt_dscnt 0xa0b
	v_mul_f64_e32 v[200:201], v[90:91], v[42:43]
	v_mul_f64_e32 v[202:203], v[88:89], v[42:43]
	v_fma_f64 v[150:151], v[225:226], v[152:153], v[249:250]
	v_fma_f64 v[152:153], v[227:228], v[152:153], -v[154:155]
	s_wait_loadcnt_dscnt 0x90a
	v_mul_f64_e32 v[196:197], v[94:95], v[38:39]
	v_fma_f64 v[154:155], v[233:234], v[164:165], v[251:252]
	v_fma_f64 v[42:43], v[235:236], v[164:165], -v[166:167]
	v_mul_f64_e32 v[198:199], v[92:93], v[38:39]
	s_wait_loadcnt_dscnt 0x807
	v_mul_f64_e32 v[168:169], v[66:67], v[6:7]
	v_mul_f64_e32 v[170:171], v[64:65], v[6:7]
	s_wait_loadcnt_dscnt 0x705
	v_mul_f64_e32 v[172:173], v[74:75], v[14:15]
	v_fma_f64 v[38:39], v[186:187], v[174:175], v[253:254]
	v_fma_f64 v[6:7], v[188:189], v[174:175], -v[176:177]
	v_mul_f64_e32 v[174:175], v[72:73], v[14:15]
	s_wait_loadcnt 0x5
	v_mul_f64_e32 v[180:181], v[50:51], v[10:11]
	v_fma_f64 v[14:15], v[213:214], v[182:183], v[205:206]
	v_fma_f64 v[164:165], v[215:216], v[182:183], -v[184:185]
	v_mul_f64_e32 v[182:183], v[48:49], v[10:11]
	s_wait_loadcnt 0x4
	v_mul_f64_e32 v[184:185], v[46:47], v[30:31]
	v_mul_f64_e32 v[186:187], v[44:45], v[30:31]
	s_wait_loadcnt 0x3
	v_mul_f64_e32 v[188:189], v[54:55], v[26:27]
	v_fma_f64 v[30:31], v[221:222], v[190:191], v[237:238]
	v_fma_f64 v[166:167], v[223:224], v[190:191], -v[192:193]
	v_mul_f64_e32 v[26:27], v[52:53], v[26:27]
	s_wait_loadcnt_dscnt 0x204
	v_mul_f64_e32 v[190:191], v[70:71], v[22:23]
	s_wait_dscnt 0x3
	v_mul_f64_e32 v[176:177], v[86:87], v[2:3]
	v_mul_f64_e32 v[178:179], v[84:85], v[2:3]
	;; [unrolled: 1-line block ×3, first 2 shown]
	s_wait_loadcnt_dscnt 0x102
	v_mul_f64_e32 v[192:193], v[78:79], v[18:19]
	v_fma_f64 v[10:11], v[229:230], v[194:195], v[239:240]
	v_fma_f64 v[2:3], v[231:232], v[194:195], -v[241:242]
	v_mul_f64_e32 v[18:19], v[76:77], v[18:19]
	s_wait_loadcnt_dscnt 0x1
	v_mul_f64_e32 v[194:195], v[82:83], v[34:35]
	v_mul_f64_e32 v[34:35], v[80:81], v[34:35]
	ds_load_b128 v[56:59], v207
	v_mov_b32_e32 v244, v136
	v_lshl_add_u32 v136, v137, 4, 0
	v_lshl_add_u32 v242, v209, 4, 0
	v_fma_f64 v[205:206], v[88:89], v[40:41], v[200:201]
	v_fma_f64 v[40:41], v[90:91], v[40:41], -v[202:203]
	ds_load_b128 v[88:91], v136
	ds_load_b128 v[200:203], v255
	v_lshl_add_u32 v243, v208, 4, 0
	v_fma_f64 v[208:209], v[92:93], v[36:37], v[196:197]
	v_fma_f64 v[36:37], v[94:95], v[36:37], -v[198:199]
	v_fma_f64 v[64:65], v[64:65], v[4:5], v[168:169]
	v_fma_f64 v[4:5], v[66:67], v[4:5], -v[170:171]
	v_fma_f64 v[66:67], v[72:73], v[12:13], v[172:173]
	v_add_f64_e64 v[168:169], v[122:123], -v[106:107]
	v_add_f64_e32 v[172:173], v[146:147], v[114:115]
	v_fma_f64 v[12:13], v[74:75], v[12:13], -v[174:175]
	v_fma_f64 v[48:49], v[48:49], v[8:9], v[180:181]
	v_add_f64_e64 v[174:175], v[148:149], -v[112:113]
	s_wait_dscnt 0x3
	v_add_f64_e32 v[74:75], v[62:63], v[144:145]
	v_fma_f64 v[8:9], v[50:51], v[8:9], -v[182:183]
	v_fma_f64 v[44:45], v[44:45], v[28:29], v[184:185]
	v_fma_f64 v[28:29], v[46:47], v[28:29], -v[186:187]
	v_fma_f64 v[46:47], v[52:53], v[24:25], v[188:189]
	v_add_f64_e32 v[52:53], v[60:61], v[126:127]
	v_add_f64_e32 v[50:51], v[144:145], v[118:119]
	v_fma_f64 v[24:25], v[54:55], v[24:25], -v[26:27]
	v_fma_f64 v[26:27], v[68:69], v[20:21], v[190:191]
	v_add_f64_e32 v[54:55], v[116:117], v[104:105]
	v_add_f64_e32 v[68:69], v[122:123], v[106:107]
	v_fma_f64 v[20:21], v[70:71], v[20:21], -v[22:23]
	v_fma_f64 v[22:23], v[76:77], v[16:17], v[192:193]
	v_fma_f64 v[72:73], v[84:85], v[0:1], v[176:177]
	v_fma_f64 v[0:1], v[86:87], v[0:1], -v[178:179]
	v_fma_f64 v[16:17], v[78:79], v[16:17], -v[18:19]
	v_fma_f64 v[18:19], v[80:81], v[32:33], v[194:195]
	v_fma_f64 v[32:33], v[82:83], v[32:33], -v[34:35]
	v_add_f64_e32 v[34:35], v[126:127], v[120:121]
	v_add_f64_e64 v[80:81], v[126:127], -v[120:121]
	v_add_f64_e32 v[126:127], v[100:101], v[142:143]
	v_add_f64_e64 v[86:87], v[142:143], -v[124:125]
	v_add_f64_e32 v[142:143], v[142:143], v[124:125]
	v_add_f64_e32 v[76:77], v[156:157], v[150:151]
	;; [unrolled: 1-line block ×7, first 2 shown]
	v_add_f64_e64 v[186:187], v[162:163], -v[42:43]
	v_add_f64_e32 v[188:189], v[108:109], v[162:163]
	v_add_f64_e32 v[162:163], v[162:163], v[42:43]
	s_wait_dscnt 0x2
	v_add_f64_e32 v[122:123], v[58:59], v[122:123]
	v_add_f64_e32 v[220:221], v[166:167], v[40:41]
	ds_load_b128 v[92:95], v204 offset:3840
	ds_load_b128 v[196:199], v204 offset:4800
	v_add_f64_e64 v[70:71], v[144:145], -v[118:119]
	v_add_f64_e32 v[144:145], v[56:57], v[116:117]
	v_add_f64_e64 v[180:181], v[158:159], -v[152:153]
	s_wait_dscnt 0x3
	v_add_f64_e32 v[158:159], v[90:91], v[158:159]
	v_add_f64_e64 v[140:141], v[140:141], -v[138:139]
	v_add_f64_e32 v[170:171], v[96:97], v[146:147]
	v_add_f64_e32 v[178:179], v[88:89], v[156:157]
	;; [unrolled: 1-line block ×4, first 2 shown]
	v_fma_f64 v[50:51], v[50:51], -0.5, v[62:63]
	v_add_f64_e32 v[52:53], v[52:53], v[120:121]
	v_add_f64_e64 v[146:147], v[146:147], -v[114:115]
	v_fma_f64 v[54:55], v[54:55], -0.5, v[56:57]
	v_fma_f64 v[56:57], v[68:69], -0.5, v[58:59]
	v_add_f64_e32 v[58:59], v[12:13], v[8:9]
	v_add_f64_e32 v[216:217], v[30:31], v[205:206]
	s_wait_dscnt 0x2
	v_add_f64_e32 v[194:195], v[202:203], v[164:165]
	v_add_f64_e32 v[228:229], v[4:5], v[0:1]
	s_wait_dscnt 0x1
	v_add_f64_e32 v[226:227], v[94:95], v[4:5]
	v_add_f64_e64 v[234:235], v[4:5], -v[0:1]
	s_wait_dscnt 0x0
	v_add_f64_e32 v[68:69], v[196:197], v[46:47]
	v_fma_f64 v[34:35], v[34:35], -0.5, v[60:61]
	v_add_f64_e32 v[120:121], v[24:25], v[16:17]
	v_add_f64_e32 v[124:125], v[126:127], v[124:125]
	;; [unrolled: 1-line block ×3, first 2 shown]
	v_fma_f64 v[4:5], v[142:143], -0.5, v[100:101]
	v_fma_f64 v[76:77], v[76:77], -0.5, v[88:89]
	;; [unrolled: 1-line block ×3, first 2 shown]
	v_add_f64_e32 v[88:89], v[46:47], v[22:23]
	v_add_f64_e32 v[90:91], v[198:199], v[24:25]
	v_fma_f64 v[84:85], v[84:85], -0.5, v[102:103]
	v_add_f64_e32 v[102:103], v[28:29], v[20:21]
	v_add_f64_e32 v[82:83], v[82:83], v[138:139]
	v_fma_f64 v[98:99], v[148:149], -0.5, v[98:99]
	v_add_f64_e32 v[74:75], v[74:75], v[118:119]
	v_add_f64_e32 v[184:185], v[160:161], v[154:155]
	v_add_f64_e64 v[160:161], v[160:161], -v[154:155]
	v_add_f64_e32 v[218:219], v[6:7], v[166:167]
	v_fma_f64 v[108:109], v[162:163], -0.5, v[108:109]
	v_add_f64_e32 v[190:191], v[200:201], v[14:15]
	v_add_f64_e32 v[214:215], v[38:39], v[30:31]
	;; [unrolled: 1-line block ×4, first 2 shown]
	v_add_f64_e64 v[232:233], v[14:15], -v[10:11]
	v_add_f64_e64 v[30:31], v[30:31], -v[205:206]
	;; [unrolled: 1-line block ×4, first 2 shown]
	v_add_f64_e32 v[14:15], v[122:123], v[106:107]
	v_fma_f64 v[26:27], v[172:173], -0.5, v[96:97]
	v_add_f64_e32 v[96:97], v[176:177], v[112:113]
	v_fma_f64 v[148:149], v[220:221], -0.5, v[6:7]
	v_add_f64_e64 v[156:157], v[156:157], -v[150:151]
	v_add_f64_e32 v[224:225], v[64:65], v[72:73]
	v_add_f64_e32 v[230:231], v[208:209], v[66:67]
	;; [unrolled: 1-line block ×4, first 2 shown]
	v_add_f64_e64 v[66:67], v[66:67], -v[48:49]
	v_fma_f64 v[36:37], v[58:59], -0.5, v[36:37]
	v_add_f64_e64 v[116:117], v[116:117], -v[104:105]
	v_add_f64_e64 v[236:237], v[12:13], -v[8:9]
	v_add_f64_e32 v[12:13], v[144:145], v[104:105]
	v_add_f64_e32 v[104:105], v[158:159], v[152:153]
	v_add_f64_e32 v[42:43], v[188:189], v[42:43]
	v_fma_f64 v[28:29], v[126:127], -0.5, v[28:29]
	v_add_f64_e64 v[240:241], v[20:21], -v[32:33]
	v_add_f64_e32 v[20:21], v[170:171], v[114:115]
	v_add_f64_e32 v[100:101], v[178:179], v[150:151]
	v_add_f64_e32 v[106:107], v[182:183], v[154:155]
	v_fma_f64 v[126:127], v[80:81], s[10:11], v[50:51]
	v_fma_f64 v[80:81], v[80:81], s[4:5], v[50:51]
	;; [unrolled: 1-line block ×3, first 2 shown]
	v_add_f64_e32 v[212:213], v[164:165], v[2:3]
	v_add_f64_e64 v[164:165], v[164:165], -v[2:3]
	v_fma_f64 v[114:115], v[192:193], -0.5, v[200:201]
	v_add_f64_e32 v[58:59], v[68:69], v[22:23]
	v_fma_f64 v[68:69], v[88:89], -0.5, v[196:197]
	v_add_f64_e32 v[88:89], v[90:91], v[16:17]
	;; [unrolled: 2-line block ×3, first 2 shown]
	v_fma_f64 v[120:121], v[70:71], s[4:5], v[34:35]
	v_fma_f64 v[70:71], v[70:71], s[10:11], v[34:35]
	;; [unrolled: 1-line block ×5, first 2 shown]
	v_add_f64_e64 v[166:167], v[166:167], -v[40:41]
	v_fma_f64 v[38:39], v[216:217], -0.5, v[38:39]
	v_add_f64_e32 v[150:151], v[226:227], v[0:1]
	v_add_f64_e32 v[0:1], v[52:53], v[82:83]
	v_add_f64_e64 v[4:5], v[52:53], -v[82:83]
	v_fma_f64 v[52:53], v[146:147], s[10:11], v[98:99]
	v_add_f64_e32 v[122:123], v[194:195], v[2:3]
	v_add_f64_e32 v[2:3], v[74:75], v[124:125]
	v_add_f64_e64 v[6:7], v[74:75], -v[124:125]
	v_fma_f64 v[74:75], v[168:169], s[4:5], v[54:55]
	v_fma_f64 v[82:83], v[168:169], s[10:11], v[54:55]
	;; [unrolled: 1-line block ×3, first 2 shown]
	v_fma_f64 v[110:111], v[184:185], -0.5, v[110:111]
	v_add_f64_e32 v[40:41], v[218:219], v[40:41]
	v_fma_f64 v[124:125], v[160:161], s[10:11], v[108:109]
	v_add_f64_e32 v[112:113], v[190:191], v[10:11]
	v_add_f64_e32 v[144:145], v[214:215], v[205:206]
	v_fma_f64 v[108:109], v[160:161], s[4:5], v[108:109]
	v_fma_f64 v[44:45], v[138:139], -0.5, v[44:45]
	v_add_f64_e32 v[10:11], v[14:15], v[96:97]
	v_add_f64_e64 v[14:15], v[14:15], -v[96:97]
	v_fma_f64 v[96:97], v[180:181], s[4:5], v[76:77]
	v_fma_f64 v[138:139], v[180:181], s[10:11], v[76:77]
	;; [unrolled: 1-line block ×6, first 2 shown]
	v_add_f64_e32 v[222:223], v[92:93], v[64:65]
	v_fma_f64 v[92:93], v[224:225], -0.5, v[92:93]
	v_fma_f64 v[60:61], v[60:61], -0.5, v[208:209]
	v_fma_f64 v[152:153], v[66:67], s[10:11], v[36:37]
	v_fma_f64 v[36:37], v[66:67], s[4:5], v[36:37]
	v_add_f64_e64 v[46:47], v[46:47], -v[22:23]
	v_add_f64_e32 v[118:119], v[118:119], v[18:19]
	v_add_f64_e32 v[18:19], v[104:105], v[42:43]
	v_add_f64_e64 v[22:23], v[104:105], -v[42:43]
	v_fma_f64 v[42:43], v[24:25], s[10:11], v[28:29]
	v_fma_f64 v[66:67], v[24:25], s[4:5], v[28:29]
	v_add_f64_e32 v[62:63], v[62:63], v[8:9]
	v_add_f64_e32 v[8:9], v[12:13], v[20:21]
	v_add_f64_e64 v[12:13], v[12:13], -v[20:21]
	v_add_f64_e32 v[16:17], v[100:101], v[106:107]
	v_add_f64_e64 v[20:21], v[100:101], -v[106:107]
	v_mul_f64_e32 v[100:101], s[4:5], v[50:51]
	v_mul_f64_e32 v[50:51], 0.5, v[50:51]
	v_fma_f64 v[104:105], v[164:165], s[4:5], v[114:115]
	v_fma_f64 v[106:107], v[164:165], s[10:11], v[114:115]
	v_mul_f64_e32 v[114:115], s[4:5], v[84:85]
	v_mul_f64_e32 v[84:85], -0.5, v[84:85]
	v_add_f64_e64 v[64:65], v[64:65], -v[72:73]
	v_fma_f64 v[94:95], v[228:229], -0.5, v[94:95]
	v_fma_f64 v[86:87], v[116:117], s[10:11], v[56:57]
	v_fma_f64 v[98:99], v[116:117], s[4:5], v[56:57]
	;; [unrolled: 1-line block ×5, first 2 shown]
	v_mul_f64_e32 v[38:39], s[4:5], v[52:53]
	v_mul_f64_e32 v[52:53], 0.5, v[52:53]
	v_fma_f64 v[116:117], v[174:175], s[10:11], v[26:27]
	v_mul_f64_e32 v[160:161], s[4:5], v[54:55]
	v_mul_f64_e32 v[54:55], -0.5, v[54:55]
	v_fma_f64 v[148:149], v[186:187], s[4:5], v[110:111]
	v_add_f64_e32 v[26:27], v[122:123], v[40:41]
	v_add_f64_e64 v[30:31], v[122:123], -v[40:41]
	v_mul_f64_e32 v[40:41], s[4:5], v[124:125]
	v_mul_f64_e32 v[122:123], 0.5, v[124:125]
	v_fma_f64 v[110:111], v[186:187], s[10:11], v[110:111]
	v_add_f64_e32 v[24:25], v[112:113], v[144:145]
	v_add_f64_e64 v[28:29], v[112:113], -v[144:145]
	v_mul_f64_e32 v[112:113], s[4:5], v[108:109]
	v_mul_f64_e32 v[108:109], -0.5, v[108:109]
	v_fma_f64 v[142:143], v[212:213], -0.5, v[202:203]
	v_mul_f64_e32 v[162:163], s[4:5], v[76:77]
	v_mul_f64_e32 v[76:77], 0.5, v[76:77]
	v_mul_f64_e32 v[164:165], s[4:5], v[78:79]
	v_mul_f64_e32 v[78:79], -0.5, v[78:79]
	v_fma_f64 v[124:125], v[234:235], s[4:5], v[92:93]
	v_fma_f64 v[144:145], v[234:235], s[10:11], v[92:93]
	;; [unrolled: 1-line block ×3, first 2 shown]
	v_mul_f64_e32 v[170:171], s[4:5], v[152:153]
	v_mul_f64_e32 v[152:153], 0.5, v[152:153]
	v_fma_f64 v[60:61], v[236:237], s[10:11], v[60:61]
	v_mul_f64_e32 v[172:173], s[4:5], v[36:37]
	v_mul_f64_e32 v[174:175], -0.5, v[36:37]
	v_fma_f64 v[166:167], v[240:241], s[4:5], v[44:45]
	v_mul_f64_e32 v[176:177], s[4:5], v[42:43]
	v_mul_f64_e32 v[180:181], 0.5, v[42:43]
	v_fma_f64 v[168:169], v[240:241], s[10:11], v[44:45]
	v_mul_f64_e32 v[178:179], s[4:5], v[66:67]
	v_mul_f64_e32 v[66:67], -0.5, v[66:67]
	v_add_f64_e32 v[72:73], v[222:223], v[72:73]
	v_add_f64_e32 v[48:49], v[230:231], v[48:49]
	v_fma_f64 v[100:101], v[32:33], 0.5, v[100:101]
	v_fma_f64 v[182:183], v[32:33], s[10:11], v[50:51]
	v_fma_f64 v[114:115], v[34:35], -0.5, v[114:115]
	v_fma_f64 v[84:85], v[34:35], s[10:11], v[84:85]
	v_fma_f64 v[184:185], v[64:65], s[10:11], v[94:95]
	;; [unrolled: 1-line block ×3, first 2 shown]
	v_fma_f64 v[94:95], v[56:57], 0.5, v[38:39]
	v_fma_f64 v[188:189], v[56:57], s[10:11], v[52:53]
	v_fma_f64 v[160:161], v[116:117], -0.5, v[160:161]
	v_fma_f64 v[116:117], v[116:117], s[10:11], v[54:55]
	v_fma_f64 v[192:193], v[148:149], 0.5, v[40:41]
	v_fma_f64 v[122:123], v[148:149], s[10:11], v[122:123]
	v_add_f64_e32 v[34:35], v[150:151], v[62:63]
	v_add_f64_e64 v[38:39], v[150:151], -v[62:63]
	v_fma_f64 v[150:151], v[238:239], s[4:5], v[68:69]
	v_fma_f64 v[112:113], v[110:111], -0.5, v[112:113]
	v_fma_f64 v[108:109], v[110:111], s[10:11], v[108:109]
	v_fma_f64 v[154:155], v[232:233], s[10:11], v[142:143]
	v_fma_f64 v[110:111], v[156:157], 0.5, v[162:163]
	v_fma_f64 v[156:157], v[156:157], s[10:11], v[76:77]
	v_fma_f64 v[142:143], v[232:233], s[4:5], v[142:143]
	v_fma_f64 v[162:163], v[158:159], -0.5, v[164:165]
	v_fma_f64 v[158:159], v[158:159], s[10:11], v[78:79]
	v_fma_f64 v[148:149], v[46:47], s[10:11], v[90:91]
	;; [unrolled: 1-line block ×3, first 2 shown]
	v_fma_f64 v[164:165], v[92:93], 0.5, v[170:171]
	v_fma_f64 v[152:153], v[92:93], s[10:11], v[152:153]
	v_fma_f64 v[194:195], v[46:47], s[4:5], v[90:91]
	v_fma_f64 v[170:171], v[60:61], -0.5, v[172:173]
	v_fma_f64 v[172:173], v[60:61], s[10:11], v[174:175]
	v_add_f64_e32 v[40:41], v[58:59], v[118:119]
	v_fma_f64 v[174:175], v[166:167], 0.5, v[176:177]
	v_fma_f64 v[166:167], v[166:167], s[10:11], v[180:181]
	v_add_f64_e64 v[44:45], v[58:59], -v[118:119]
	v_fma_f64 v[176:177], v[168:169], -0.5, v[178:179]
	v_fma_f64 v[168:169], v[168:169], s[10:11], v[66:67]
	v_add_f64_e32 v[42:43], v[88:89], v[102:103]
	v_add_f64_e32 v[32:33], v[72:73], v[48:49]
	v_add_f64_e64 v[36:37], v[72:73], -v[48:49]
	v_add_f64_e32 v[48:49], v[120:121], v[100:101]
	v_add_f64_e32 v[50:51], v[126:127], v[182:183]
	v_add_f64_e32 v[52:53], v[70:71], v[114:115]
	v_add_f64_e32 v[54:55], v[80:81], v[84:85]
	v_add_f64_e64 v[56:57], v[120:121], -v[100:101]
	v_add_f64_e64 v[58:59], v[126:127], -v[182:183]
	v_add_f64_e64 v[60:61], v[70:71], -v[114:115]
	v_add_f64_e64 v[62:63], v[80:81], -v[84:85]
	v_add_f64_e32 v[64:65], v[74:75], v[94:95]
	v_add_f64_e32 v[66:67], v[86:87], v[188:189]
	v_add_f64_e32 v[68:69], v[82:83], v[160:161]
	v_add_f64_e32 v[70:71], v[98:99], v[116:117]
	v_add_f64_e64 v[72:73], v[74:75], -v[94:95]
	v_add_f64_e64 v[74:75], v[86:87], -v[188:189]
	v_add_f64_e64 v[76:77], v[82:83], -v[160:161]
	;; [unrolled: 8-line block ×3, first 2 shown]
	v_add_f64_e64 v[92:93], v[138:139], -v[112:113]
	v_add_f64_e64 v[94:95], v[146:147], -v[108:109]
	v_add_f64_e32 v[96:97], v[104:105], v[110:111]
	v_add_f64_e32 v[98:99], v[154:155], v[156:157]
	v_add_f64_e32 v[100:101], v[106:107], v[162:163]
	v_add_f64_e32 v[102:103], v[142:143], v[158:159]
	v_add_f64_e64 v[104:105], v[104:105], -v[110:111]
	v_add_f64_e64 v[108:109], v[106:107], -v[162:163]
	v_add_f64_e64 v[106:107], v[154:155], -v[156:157]
	v_add_f64_e64 v[110:111], v[142:143], -v[158:159]
	v_add_f64_e32 v[112:113], v[124:125], v[164:165]
	v_add_f64_e32 v[114:115], v[184:185], v[152:153]
	v_add_f64_e32 v[116:117], v[144:145], v[170:171]
	v_add_f64_e32 v[118:119], v[186:187], v[172:173]
	v_add_f64_e64 v[120:121], v[124:125], -v[164:165]
	v_add_f64_e64 v[122:123], v[184:185], -v[152:153]
	;; [unrolled: 8-line block ×3, first 2 shown]
	v_add_f64_e64 v[150:151], v[190:191], -v[176:177]
	v_add_f64_e64 v[152:153], v[194:195], -v[168:169]
	global_wb scope:SCOPE_SE
	s_barrier_signal -1
	s_barrier_wait -1
	global_inv scope:SCOPE_SE
	ds_store_b128 v204, v[0:3]
	ds_store_b128 v204, v[48:51] offset:960
	ds_store_b128 v204, v[52:55] offset:1920
	;; [unrolled: 1-line block ×35, first 2 shown]
	global_wb scope:SCOPE_SE
	s_wait_dscnt 0x0
	s_barrier_signal -1
	s_barrier_wait -1
	global_inv scope:SCOPE_SE
	s_clause 0x3
	global_load_b128 v[36:39], v131, s[8:9] offset:5600
	global_load_b128 v[40:43], v131, s[8:9] offset:5616
	;; [unrolled: 1-line block ×4, first 2 shown]
	v_mul_i32_i24_e32 v93, 5, v130
	v_mov_b32_e32 v94, 0
	s_delay_alu instid0(VALU_DEP_1) | instskip(SKIP_1) | instid1(VALU_DEP_1)
	v_lshlrev_b64_e32 v[0:1], 4, v[93:94]
	v_mul_i32_i24_e32 v93, 5, v137
	v_lshlrev_b64_e32 v[2:3], 4, v[93:94]
	s_delay_alu instid0(VALU_DEP_3) | instskip(SKIP_1) | instid1(VALU_DEP_4)
	v_add_co_u32 v0, s0, s8, v0
	s_wait_alu 0xf1ff
	v_add_co_ci_u32_e64 v1, s0, s9, v1, s0
	s_clause 0x1
	global_load_b128 v[52:55], v131, s[8:9] offset:5664
	global_load_b128 v[56:59], v[0:1], off offset:5600
	v_add_co_u32 v2, s0, s8, v2
	s_clause 0x2
	global_load_b128 v[62:65], v[0:1], off offset:5616
	global_load_b128 v[66:69], v[0:1], off offset:5632
	;; [unrolled: 1-line block ×3, first 2 shown]
	s_wait_alu 0xf1ff
	v_add_co_ci_u32_e64 v3, s0, s9, v3, s0
	s_clause 0x3
	global_load_b128 v[74:77], v[0:1], off offset:5664
	global_load_b128 v[82:85], v[2:3], off offset:5600
	;; [unrolled: 1-line block ×4, first 2 shown]
	v_mul_i32_i24_e32 v93, 5, v244
	s_clause 0x1
	global_load_b128 v[146:149], v[2:3], off offset:5648
	global_load_b128 v[166:169], v[2:3], off offset:5664
	v_mul_u32_u24_e32 v2, 5, v129
	v_lshlrev_b64_e32 v[0:1], 4, v[93:94]
	s_delay_alu instid0(VALU_DEP_2) | instskip(NEXT) | instid1(VALU_DEP_2)
	v_lshlrev_b32_e32 v32, 4, v2
	v_add_co_u32 v0, s0, s8, v0
	s_wait_alu 0xf1ff
	s_delay_alu instid0(VALU_DEP_3)
	v_add_co_ci_u32_e64 v1, s0, s9, v1, s0
	s_clause 0xe
	global_load_b128 v[170:173], v[0:1], off offset:5600
	global_load_b128 v[174:177], v[0:1], off offset:5616
	;; [unrolled: 1-line block ×5, first 2 shown]
	global_load_b128 v[190:193], v32, s[8:9] offset:5600
	global_load_b128 v[8:11], v32, s[8:9] offset:5616
	;; [unrolled: 1-line block ×10, first 2 shown]
	ds_load_b128 v[78:81], v204 offset:5760
	ds_load_b128 v[90:93], v204 offset:11520
	;; [unrolled: 1-line block ×18, first 2 shown]
	s_wait_loadcnt_dscnt 0x1d11
	v_mul_f64_e32 v[60:61], v[80:81], v[38:39]
	s_wait_loadcnt_dscnt 0x1c10
	v_mul_f64_e32 v[107:108], v[92:93], v[42:43]
	;; [unrolled: 2-line block ×3, first 2 shown]
	v_mul_f64_e32 v[46:47], v[99:100], v[46:47]
	s_wait_loadcnt_dscnt 0x1a0e
	v_mul_f64_e32 v[154:155], v[105:106], v[50:51]
	v_mul_f64_e32 v[50:51], v[103:104], v[50:51]
	;; [unrolled: 1-line block ×4, first 2 shown]
	s_wait_loadcnt_dscnt 0x190c
	v_mul_f64_e32 v[156:157], v[117:118], v[54:55]
	s_wait_loadcnt 0x18
	v_mul_f64_e32 v[202:203], v[113:114], v[58:59]
	v_mul_f64_e32 v[58:59], v[111:112], v[58:59]
	v_mul_f64_e32 v[54:55], v[115:116], v[54:55]
	s_wait_loadcnt_dscnt 0x170a
	v_mul_f64_e32 v[205:206], v[121:122], v[64:65]
	s_wait_loadcnt_dscnt 0x1609
	v_mul_f64_e32 v[236:237], v[152:153], v[68:69]
	s_wait_loadcnt 0x15
	v_mul_f64_e32 v[238:239], v[160:161], v[72:73]
	v_mul_f64_e32 v[64:65], v[119:120], v[64:65]
	;; [unrolled: 1-line block ×4, first 2 shown]
	v_fma_f64 v[95:96], v[78:79], v[36:37], v[60:61]
	s_wait_loadcnt_dscnt 0x1408
	v_mul_f64_e32 v[78:79], v[164:165], v[76:77]
	v_mul_f64_e32 v[76:77], v[162:163], v[76:77]
	v_fma_f64 v[125:126], v[90:91], v[40:41], v[107:108]
	s_wait_loadcnt_dscnt 0x1307
	v_mul_f64_e32 v[90:91], v[196:197], v[84:85]
	v_fma_f64 v[123:124], v[99:100], v[44:45], v[109:110]
	v_fma_f64 v[138:139], v[101:102], v[44:45], -v[46:47]
	v_mul_f64_e32 v[44:45], v[194:195], v[84:85]
	s_wait_loadcnt_dscnt 0x1205
	v_mul_f64_e32 v[84:85], v[210:211], v[88:89]
	v_fma_f64 v[105:106], v[105:106], v[48:49], -v[50:51]
	v_mul_f64_e32 v[50:51], v[208:209], v[88:89]
	v_fma_f64 v[140:141], v[92:93], v[40:41], -v[42:43]
	ds_load_b128 v[40:43], v204 offset:30720
	v_fma_f64 v[97:98], v[80:81], v[36:37], -v[38:39]
	ds_load_b128 v[36:39], v204 offset:25920
	v_fma_f64 v[107:108], v[103:104], v[48:49], v[154:155]
	s_wait_loadcnt_dscnt 0x1105
	v_mul_f64_e32 v[88:89], v[218:219], v[144:145]
	v_mul_f64_e32 v[144:145], v[216:217], v[144:145]
	s_wait_loadcnt_dscnt 0x1003
	v_mul_f64_e32 v[240:241], v[226:227], v[148:149]
	v_mul_f64_e32 v[148:149], v[224:225], v[148:149]
	v_fma_f64 v[109:110], v[115:116], v[52:53], v[156:157]
	v_fma_f64 v[101:102], v[111:112], v[56:57], v[202:203]
	v_fma_f64 v[99:100], v[113:114], v[56:57], -v[58:59]
	v_fma_f64 v[103:104], v[117:118], v[52:53], -v[54:55]
	v_fma_f64 v[154:155], v[119:120], v[62:63], v[205:206]
	v_fma_f64 v[150:151], v[150:151], v[66:67], v[236:237]
	s_wait_loadcnt 0xe
	v_mul_f64_e32 v[205:206], v[200:201], v[172:173]
	v_mul_f64_e32 v[172:173], v[198:199], v[172:173]
	s_wait_loadcnt 0xd
	v_mul_f64_e32 v[236:237], v[214:215], v[176:177]
	v_fma_f64 v[113:114], v[158:159], v[70:71], v[238:239]
	s_wait_dscnt 0x1
	v_mul_f64_e32 v[202:203], v[42:43], v[168:169]
	v_mul_f64_e32 v[168:169], v[40:41], v[168:169]
	;; [unrolled: 1-line block ×3, first 2 shown]
	s_wait_loadcnt 0xc
	v_mul_f64_e32 v[238:239], v[222:223], v[180:181]
	v_mul_f64_e32 v[180:181], v[220:221], v[180:181]
	v_fma_f64 v[156:157], v[121:122], v[62:63], -v[64:65]
	ds_load_b128 v[232:235], v204 offset:9600
	ds_load_b128 v[46:49], v204 offset:10560
	;; [unrolled: 1-line block ×3, first 2 shown]
	v_fma_f64 v[121:122], v[162:163], v[74:75], v[78:79]
	v_fma_f64 v[117:118], v[164:165], v[74:75], -v[76:77]
	v_fma_f64 v[152:153], v[152:153], v[66:67], -v[68:69]
	ds_load_b128 v[66:69], v204 offset:15360
	ds_load_b128 v[62:65], v204 offset:16320
	v_fma_f64 v[115:116], v[160:161], v[70:71], -v[72:73]
	ds_load_b128 v[78:81], v204 offset:21120
	ds_load_b128 v[70:73], v204 offset:22080
	v_fma_f64 v[111:112], v[196:197], v[82:83], -v[44:45]
	s_wait_loadcnt_dscnt 0xb07
	v_mul_f64_e32 v[44:45], v[38:39], v[184:185]
	v_fma_f64 v[162:163], v[208:209], v[86:87], v[84:85]
	v_fma_f64 v[164:165], v[210:211], v[86:87], -v[50:51]
	v_mul_f64_e32 v[86:87], v[36:37], v[184:185]
	v_fma_f64 v[119:120], v[194:195], v[82:83], v[90:91]
	ds_load_b128 v[90:93], v204 offset:26880
	ds_load_b128 v[74:77], v204 offset:27840
	;; [unrolled: 1-line block ×3, first 2 shown]
	ds_load_b128 v[54:57], v204
	ds_load_b128 v[50:53], v207
	s_wait_loadcnt 0xa
	v_mul_f64_e32 v[184:185], v[228:229], v[188:189]
	v_fma_f64 v[158:159], v[216:217], v[142:143], v[88:89]
	v_fma_f64 v[160:161], v[218:219], v[142:143], -v[144:145]
	v_fma_f64 v[142:143], v[224:225], v[146:147], v[240:241]
	v_fma_f64 v[144:145], v[226:227], v[146:147], -v[148:149]
	s_wait_loadcnt_dscnt 0x40a
	v_mul_f64_e32 v[216:217], v[48:49], v[30:31]
	v_mul_f64_e32 v[88:89], v[230:231], v[188:189]
	;; [unrolled: 1-line block ×3, first 2 shown]
	s_wait_dscnt 0x8
	v_mul_f64_e32 v[194:195], v[68:69], v[10:11]
	v_mul_f64_e32 v[196:197], v[66:67], v[10:11]
	s_wait_dscnt 0x6
	v_mul_f64_e32 v[208:209], v[78:79], v[6:7]
	v_mul_f64_e32 v[192:193], v[232:233], v[192:193]
	v_fma_f64 v[10:11], v[198:199], v[170:171], v[205:206]
	v_mul_f64_e32 v[205:206], v[58:59], v[14:15]
	v_fma_f64 v[148:149], v[40:41], v[166:167], v[202:203]
	v_fma_f64 v[146:147], v[42:43], v[166:167], -v[168:169]
	v_mul_f64_e32 v[202:203], v[80:81], v[6:7]
	v_fma_f64 v[6:7], v[200:201], v[170:171], -v[172:173]
	v_mul_f64_e32 v[200:201], v[60:61], v[14:15]
	v_fma_f64 v[172:173], v[214:215], v[174:175], -v[176:177]
	s_wait_loadcnt_dscnt 0x205
	v_mul_f64_e32 v[214:215], v[72:73], v[22:23]
	v_fma_f64 v[168:169], v[220:221], v[178:179], v[238:239]
	v_fma_f64 v[170:171], v[222:223], v[178:179], -v[180:181]
	v_mul_f64_e32 v[178:179], v[70:71], v[22:23]
	s_wait_dscnt 0x4
	v_mul_f64_e32 v[210:211], v[92:93], v[2:3]
	v_mul_f64_e32 v[198:199], v[90:91], v[2:3]
	v_fma_f64 v[166:167], v[212:213], v[174:175], v[236:237]
	v_mul_f64_e32 v[174:175], v[46:47], v[30:31]
	v_mul_f64_e32 v[176:177], v[64:65], v[26:27]
	;; [unrolled: 1-line block ×3, first 2 shown]
	s_wait_loadcnt_dscnt 0x2
	v_mul_f64_e32 v[220:221], v[84:85], v[34:35]
	v_fma_f64 v[30:31], v[36:37], v[182:183], v[44:45]
	v_fma_f64 v[22:23], v[38:39], v[182:183], -v[86:87]
	v_mul_f64_e32 v[182:183], v[82:83], v[34:35]
	v_mul_f64_e32 v[180:181], v[76:77], v[18:19]
	;; [unrolled: 1-line block ×3, first 2 shown]
	v_fma_f64 v[18:19], v[230:231], v[186:187], -v[184:185]
	v_add_f64_e32 v[184:185], v[101:102], v[150:151]
	v_fma_f64 v[46:47], v[46:47], v[28:29], v[216:217]
	v_fma_f64 v[26:27], v[228:229], v[186:187], v[88:89]
	ds_load_b128 v[86:89], v136
	ds_load_b128 v[42:45], v255
	v_fma_f64 v[66:67], v[66:67], v[8:9], v[194:195]
	v_fma_f64 v[8:9], v[68:69], v[8:9], -v[196:197]
	v_fma_f64 v[14:15], v[232:233], v[190:191], v[188:189]
	v_fma_f64 v[2:3], v[234:235], v[190:191], -v[192:193]
	v_add_f64_e64 v[188:189], v[152:153], -v[117:118]
	v_add_f64_e32 v[190:191], v[99:100], v[152:153]
	v_add_f64_e32 v[152:153], v[152:153], v[117:118]
	ds_load_b128 v[38:41], v204 offset:3840
	ds_load_b128 v[34:37], v204 offset:4800
	v_add_f64_e32 v[196:197], v[119:120], v[158:159]
	v_add_f64_e64 v[194:195], v[164:165], -v[144:145]
	v_add_f64_e32 v[186:187], v[150:151], v[121:122]
	v_fma_f64 v[68:69], v[78:79], v[4:5], v[202:203]
	v_fma_f64 v[4:5], v[80:81], v[4:5], -v[208:209]
	v_fma_f64 v[58:59], v[58:59], v[12:13], v[200:201]
	v_fma_f64 v[12:13], v[60:61], v[12:13], -v[205:206]
	v_fma_f64 v[60:61], v[70:71], v[20:21], v[214:215]
	s_wait_dscnt 0x5
	v_add_f64_e32 v[70:71], v[54:55], v[125:126]
	v_add_f64_e32 v[80:81], v[56:57], v[140:141]
	v_fma_f64 v[20:21], v[72:73], v[20:21], -v[178:179]
	v_add_f64_e32 v[72:73], v[125:126], v[107:108]
	v_fma_f64 v[78:79], v[90:91], v[0:1], v[210:211]
	v_fma_f64 v[0:1], v[92:93], v[0:1], -v[198:199]
	v_fma_f64 v[28:29], v[48:49], v[28:29], -v[174:175]
	v_fma_f64 v[48:49], v[62:63], v[24:25], v[176:177]
	v_fma_f64 v[24:25], v[64:65], v[24:25], -v[212:213]
	v_fma_f64 v[64:65], v[82:83], v[32:33], v[220:221]
	v_add_f64_e32 v[92:93], v[95:96], v[123:124]
	v_add_f64_e64 v[176:177], v[138:139], -v[103:104]
	v_fma_f64 v[32:33], v[84:85], v[32:33], -v[182:183]
	v_fma_f64 v[62:63], v[74:75], v[16:17], v[180:181]
	v_add_f64_e32 v[74:75], v[140:141], v[105:106]
	v_add_f64_e32 v[84:85], v[154:155], v[113:114]
	v_add_f64_e32 v[178:179], v[97:98], v[138:139]
	v_add_f64_e32 v[138:139], v[138:139], v[103:104]
	v_add_f64_e32 v[90:91], v[156:157], v[115:116]
	v_fma_f64 v[16:17], v[76:77], v[16:17], -v[218:219]
	v_add_f64_e64 v[76:77], v[140:141], -v[105:106]
	v_add_f64_e64 v[82:83], v[125:126], -v[107:108]
	v_add_f64_e32 v[125:126], v[123:124], v[109:110]
	v_add_f64_e32 v[140:141], v[162:163], v[142:143]
	v_add_f64_e64 v[200:201], v[160:161], -v[146:147]
	v_add_f64_e32 v[202:203], v[111:112], v[160:161]
	v_add_f64_e32 v[160:161], v[160:161], v[146:147]
	;; [unrolled: 1-line block ×3, first 2 shown]
	s_wait_dscnt 0x4
	v_add_f64_e32 v[180:181], v[50:51], v[154:155]
	s_wait_dscnt 0x3
	v_add_f64_e32 v[192:193], v[86:87], v[162:163]
	v_add_f64_e32 v[218:219], v[6:7], v[170:171]
	;; [unrolled: 1-line block ×3, first 2 shown]
	v_add_f64_e64 v[182:183], v[156:157], -v[115:116]
	v_add_f64_e32 v[156:157], v[52:53], v[156:157]
	s_wait_dscnt 0x2
	v_add_f64_e32 v[212:213], v[44:45], v[172:173]
	v_add_f64_e64 v[123:124], v[123:124], -v[109:110]
	v_add_f64_e32 v[164:165], v[88:89], v[164:165]
	v_add_f64_e32 v[208:209], v[166:167], v[30:31]
	;; [unrolled: 1-line block ×4, first 2 shown]
	v_add_f64_e64 v[150:151], v[150:151], -v[121:122]
	v_fma_f64 v[54:55], v[72:73], -0.5, v[54:55]
	v_add_f64_e32 v[72:73], v[4:5], v[12:13]
	s_wait_dscnt 0x1
	v_add_f64_e32 v[226:227], v[40:41], v[8:9]
	v_add_f64_e32 v[105:106], v[28:29], v[20:21]
	;; [unrolled: 1-line block ×6, first 2 shown]
	v_add_f64_e64 v[236:237], v[8:9], -v[0:1]
	v_add_f64_e32 v[109:110], v[20:21], v[32:33]
	v_add_f64_e64 v[242:243], v[20:21], -v[32:33]
	v_fma_f64 v[56:57], v[74:75], -0.5, v[56:57]
	v_fma_f64 v[50:51], v[84:85], -0.5, v[50:51]
	v_add_f64_e32 v[84:85], v[48:49], v[62:63]
	v_fma_f64 v[20:21], v[138:139], -0.5, v[97:98]
	s_wait_dscnt 0x0
	v_add_f64_e32 v[74:75], v[34:35], v[48:49]
	v_fma_f64 v[52:53], v[90:91], -0.5, v[52:53]
	v_add_f64_e32 v[90:91], v[36:37], v[24:25]
	v_add_f64_e64 v[238:239], v[4:5], -v[12:13]
	v_fma_f64 v[4:5], v[125:126], -0.5, v[95:96]
	v_fma_f64 v[86:87], v[140:141], -0.5, v[86:87]
	v_add_f64_e32 v[140:141], v[24:25], v[16:17]
	v_add_f64_e32 v[8:9], v[178:179], v[103:104]
	v_fma_f64 v[99:100], v[152:153], -0.5, v[99:100]
	v_add_f64_e32 v[198:199], v[158:159], v[148:149]
	v_add_f64_e64 v[158:159], v[158:159], -v[148:149]
	v_add_f64_e32 v[205:206], v[42:43], v[166:167]
	v_add_f64_e64 v[210:211], v[172:173], -v[22:23]
	v_add_f64_e32 v[172:173], v[172:173], v[22:23]
	v_add_f64_e32 v[214:215], v[10:11], v[168:169]
	;; [unrolled: 1-line block ×3, first 2 shown]
	v_fma_f64 v[111:112], v[160:161], -0.5, v[111:112]
	v_add_f64_e64 v[154:155], v[154:155], -v[113:114]
	v_add_f64_e64 v[162:163], v[162:163], -v[142:143]
	v_fma_f64 v[88:89], v[174:175], -0.5, v[88:89]
	v_add_f64_e32 v[174:175], v[46:47], v[60:61]
	v_add_f64_e64 v[170:171], v[170:171], -v[18:19]
	v_add_f64_e64 v[168:169], v[168:169], -v[26:27]
	;; [unrolled: 1-line block ×4, first 2 shown]
	v_add_f64_e32 v[60:61], v[180:181], v[113:114]
	v_add_f64_e32 v[97:98], v[184:185], v[121:122]
	;; [unrolled: 1-line block ×4, first 2 shown]
	v_fma_f64 v[18:19], v[220:221], -0.5, v[6:7]
	v_add_f64_e32 v[232:233], v[68:69], v[58:59]
	v_add_f64_e32 v[95:96], v[156:157], v[115:116]
	v_add_f64_e32 v[103:104], v[190:191], v[117:118]
	v_add_f64_e32 v[230:231], v[14:15], v[68:69]
	v_add_f64_e64 v[68:69], v[68:69], -v[58:59]
	v_add_f64_e32 v[125:126], v[212:213], v[22:23]
	v_fma_f64 v[22:23], v[72:73], -0.5, v[2:3]
	v_add_f64_e32 v[117:118], v[196:197], v[148:149]
	v_fma_f64 v[28:29], v[109:110], -0.5, v[28:29]
	v_add_f64_e32 v[115:116], v[164:165], v[144:145]
	v_add_f64_e32 v[121:122], v[202:203], v[146:147]
	v_fma_f64 v[72:73], v[84:85], -0.5, v[34:35]
	v_fma_f64 v[34:35], v[107:108], -0.5, v[46:47]
	v_add_f64_e32 v[46:47], v[105:106], v[32:33]
	v_fma_f64 v[105:106], v[82:83], s[10:11], v[56:57]
	v_fma_f64 v[82:83], v[82:83], s[4:5], v[56:57]
	;; [unrolled: 1-line block ×3, first 2 shown]
	v_add_f64_e64 v[48:49], v[48:49], -v[62:63]
	v_fma_f64 v[42:43], v[208:209], -0.5, v[42:43]
	v_add_f64_e32 v[62:63], v[74:75], v[62:63]
	v_add_f64_e32 v[74:75], v[90:91], v[16:17]
	v_fma_f64 v[90:91], v[76:77], s[4:5], v[54:55]
	v_fma_f64 v[76:77], v[76:77], s[10:11], v[54:55]
	;; [unrolled: 1-line block ×3, first 2 shown]
	v_fma_f64 v[101:102], v[186:187], -0.5, v[101:102]
	v_add_f64_e32 v[144:145], v[226:227], v[0:1]
	v_fma_f64 v[84:85], v[140:141], -0.5, v[36:37]
	v_fma_f64 v[32:33], v[176:177], s[4:5], v[4:5]
	v_fma_f64 v[36:37], v[176:177], s[10:11], v[4:5]
	v_add_f64_e32 v[0:1], v[70:71], v[92:93]
	v_add_f64_e32 v[2:3], v[80:81], v[8:9]
	v_add_f64_e64 v[4:5], v[70:71], -v[92:93]
	v_add_f64_e64 v[6:7], v[80:81], -v[8:9]
	v_fma_f64 v[80:81], v[182:183], s[4:5], v[50:51]
	v_fma_f64 v[92:93], v[182:183], s[10:11], v[50:51]
	;; [unrolled: 1-line block ×4, first 2 shown]
	v_add_f64_e64 v[166:167], v[166:167], -v[30:31]
	v_fma_f64 v[119:120], v[198:199], -0.5, v[119:120]
	v_add_f64_e32 v[30:31], v[205:206], v[30:31]
	v_fma_f64 v[44:45], v[172:173], -0.5, v[44:45]
	v_add_f64_e32 v[138:139], v[214:215], v[26:27]
	v_fma_f64 v[26:27], v[216:217], -0.5, v[10:11]
	v_fma_f64 v[109:110], v[158:159], s[10:11], v[111:112]
	v_fma_f64 v[111:112], v[158:159], s[4:5], v[111:112]
	v_add_f64_e32 v[224:225], v[66:67], v[78:79]
	v_add_f64_e32 v[148:149], v[234:235], v[12:13]
	;; [unrolled: 1-line block ×3, first 2 shown]
	v_add_f64_e64 v[12:13], v[60:61], -v[97:98]
	v_fma_f64 v[60:61], v[168:169], s[10:11], v[18:19]
	v_fma_f64 v[146:147], v[232:233], -0.5, v[14:15]
	v_add_f64_e32 v[10:11], v[95:96], v[103:104]
	v_add_f64_e64 v[14:15], v[95:96], -v[103:104]
	v_fma_f64 v[95:96], v[194:195], s[4:5], v[86:87]
	v_fma_f64 v[97:98], v[194:195], s[10:11], v[86:87]
	;; [unrolled: 1-line block ×5, first 2 shown]
	v_add_f64_e32 v[16:17], v[113:114], v[117:118]
	v_add_f64_e64 v[20:21], v[113:114], -v[117:118]
	v_fma_f64 v[113:114], v[24:25], s[10:11], v[28:29]
	v_add_f64_e32 v[18:19], v[115:116], v[121:122]
	v_add_f64_e64 v[22:23], v[115:116], -v[121:122]
	v_fma_f64 v[115:116], v[24:25], s[4:5], v[28:29]
	v_mul_f64_e32 v[150:151], s[4:5], v[56:57]
	v_mul_f64_e32 v[56:57], -0.5, v[56:57]
	v_fma_f64 v[117:118], v[210:211], s[4:5], v[42:43]
	v_fma_f64 v[121:122], v[210:211], s[10:11], v[42:43]
	v_mul_f64_e32 v[42:43], s[4:5], v[54:55]
	v_mul_f64_e32 v[54:55], 0.5, v[54:55]
	v_add_f64_e32 v[222:223], v[38:39], v[66:67]
	v_fma_f64 v[99:100], v[154:155], s[10:11], v[52:53]
	v_fma_f64 v[107:108], v[154:155], s[4:5], v[52:53]
	;; [unrolled: 1-line block ×3, first 2 shown]
	v_mul_f64_e32 v[158:159], s[4:5], v[50:51]
	v_mul_f64_e32 v[50:51], 0.5, v[50:51]
	v_fma_f64 v[101:102], v[188:189], s[10:11], v[101:102]
	v_mul_f64_e32 v[160:161], s[4:5], v[70:71]
	v_mul_f64_e32 v[70:71], -0.5, v[70:71]
	v_fma_f64 v[103:104], v[162:163], s[10:11], v[88:89]
	v_fma_f64 v[123:124], v[162:163], s[4:5], v[88:89]
	;; [unrolled: 1-line block ×7, first 2 shown]
	v_add_f64_e32 v[24:25], v[30:31], v[138:139]
	v_add_f64_e32 v[26:27], v[125:126], v[142:143]
	v_add_f64_e64 v[28:29], v[30:31], -v[138:139]
	v_add_f64_e64 v[30:31], v[125:126], -v[142:143]
	v_mul_f64_e32 v[125:126], s[4:5], v[109:110]
	v_mul_f64_e32 v[109:110], 0.5, v[109:110]
	v_fma_f64 v[119:120], v[200:201], s[10:11], v[119:120]
	v_mul_f64_e32 v[138:139], s[4:5], v[111:112]
	v_mul_f64_e32 v[111:112], -0.5, v[111:112]
	v_fma_f64 v[38:39], v[224:225], -0.5, v[38:39]
	v_mul_f64_e32 v[166:167], s[4:5], v[60:61]
	v_mul_f64_e32 v[60:61], 0.5, v[60:61]
	v_mul_f64_e32 v[168:169], s[4:5], v[86:87]
	v_mul_f64_e32 v[86:87], -0.5, v[86:87]
	v_add_f64_e64 v[66:67], v[66:67], -v[78:79]
	v_fma_f64 v[40:41], v[228:229], -0.5, v[40:41]
	v_add_f64_e32 v[64:65], v[174:175], v[64:65]
	v_fma_f64 v[164:165], v[238:239], s[4:5], v[146:147]
	v_mul_f64_e32 v[174:175], s[4:5], v[140:141]
	v_mul_f64_e32 v[140:141], 0.5, v[140:141]
	v_fma_f64 v[146:147], v[238:239], s[10:11], v[146:147]
	v_mul_f64_e32 v[176:177], s[4:5], v[68:69]
	v_mul_f64_e32 v[68:69], -0.5, v[68:69]
	v_fma_f64 v[170:171], v[242:243], s[4:5], v[34:35]
	v_mul_f64_e32 v[178:179], s[4:5], v[113:114]
	v_mul_f64_e32 v[113:114], 0.5, v[113:114]
	v_fma_f64 v[172:173], v[242:243], s[10:11], v[34:35]
	v_mul_f64_e32 v[180:181], s[4:5], v[115:116]
	v_mul_f64_e32 v[115:116], -0.5, v[115:116]
	v_fma_f64 v[150:151], v[36:37], -0.5, v[150:151]
	v_fma_f64 v[186:187], v[36:37], s[10:11], v[56:57]
	v_fma_f64 v[182:183], v[32:33], 0.5, v[42:43]
	v_fma_f64 v[184:185], v[32:33], s[10:11], v[54:55]
	v_add_f64_e32 v[78:79], v[222:223], v[78:79]
	v_add_f64_e32 v[58:59], v[230:231], v[58:59]
	v_fma_f64 v[158:159], v[52:53], 0.5, v[158:159]
	v_fma_f64 v[192:193], v[52:53], s[10:11], v[50:51]
	v_fma_f64 v[160:161], v[101:102], -0.5, v[160:161]
	v_fma_f64 v[101:102], v[101:102], s[10:11], v[70:71]
	v_add_f64_e32 v[34:35], v[144:145], v[148:149]
	v_fma_f64 v[194:195], v[240:241], s[4:5], v[72:73]
	v_fma_f64 v[198:199], v[48:49], s[10:11], v[84:85]
	v_fma_f64 v[125:126], v[88:89], 0.5, v[125:126]
	v_fma_f64 v[109:110], v[88:89], s[10:11], v[109:110]
	v_fma_f64 v[196:197], v[240:241], s[10:11], v[72:73]
	v_fma_f64 v[138:139], v[119:120], -0.5, v[138:139]
	v_fma_f64 v[111:112], v[119:120], s[10:11], v[111:112]
	v_fma_f64 v[142:143], v[236:237], s[4:5], v[38:39]
	;; [unrolled: 1-line block ×3, first 2 shown]
	v_add_f64_e64 v[38:39], v[144:145], -v[148:149]
	v_fma_f64 v[119:120], v[44:45], 0.5, v[166:167]
	v_fma_f64 v[148:149], v[44:45], s[10:11], v[60:61]
	v_fma_f64 v[144:145], v[156:157], -0.5, v[168:169]
	v_fma_f64 v[156:157], v[156:157], s[10:11], v[86:87]
	v_fma_f64 v[188:189], v[66:67], s[10:11], v[40:41]
	;; [unrolled: 1-line block ×3, first 2 shown]
	v_fma_f64 v[166:167], v[164:165], 0.5, v[174:175]
	v_fma_f64 v[140:141], v[164:165], s[10:11], v[140:141]
	v_fma_f64 v[200:201], v[48:49], s[4:5], v[84:85]
	v_fma_f64 v[168:169], v[146:147], -0.5, v[176:177]
	v_fma_f64 v[164:165], v[146:147], s[10:11], v[68:69]
	v_add_f64_e32 v[40:41], v[62:63], v[64:65]
	v_fma_f64 v[174:175], v[170:171], 0.5, v[178:179]
	v_fma_f64 v[170:171], v[170:171], s[10:11], v[113:114]
	v_add_f64_e64 v[44:45], v[62:63], -v[64:65]
	v_fma_f64 v[176:177], v[172:173], -0.5, v[180:181]
	v_fma_f64 v[172:173], v[172:173], s[10:11], v[115:116]
	v_add_f64_e32 v[52:53], v[76:77], v[150:151]
	v_add_f64_e32 v[54:55], v[82:83], v[186:187]
	;; [unrolled: 1-line block ×4, first 2 shown]
	v_add_f64_e64 v[56:57], v[90:91], -v[182:183]
	v_add_f64_e32 v[32:33], v[78:79], v[58:59]
	v_add_f64_e64 v[36:37], v[78:79], -v[58:59]
	v_add_f64_e64 v[58:59], v[105:106], -v[184:185]
	;; [unrolled: 1-line block ×4, first 2 shown]
	v_add_f64_e32 v[64:65], v[80:81], v[158:159]
	v_add_f64_e32 v[66:67], v[99:100], v[192:193]
	;; [unrolled: 1-line block ×5, first 2 shown]
	v_add_f64_e64 v[46:47], v[74:75], -v[46:47]
	v_add_f64_e64 v[72:73], v[80:81], -v[158:159]
	v_add_f64_e64 v[74:75], v[99:100], -v[192:193]
	v_add_f64_e64 v[76:77], v[92:93], -v[160:161]
	v_add_f64_e64 v[78:79], v[107:108], -v[101:102]
	v_add_f64_e32 v[80:81], v[95:96], v[125:126]
	v_add_f64_e32 v[82:83], v[103:104], v[109:110]
	v_add_f64_e32 v[84:85], v[97:98], v[138:139]
	v_add_f64_e32 v[86:87], v[123:124], v[111:112]
	v_add_f64_e64 v[88:89], v[95:96], -v[125:126]
	v_add_f64_e64 v[90:91], v[103:104], -v[109:110]
	v_add_f64_e64 v[95:96], v[97:98], -v[138:139]
	v_add_f64_e64 v[97:98], v[123:124], -v[111:112]
	v_add_f64_e32 v[99:100], v[117:118], v[119:120]
	v_add_f64_e32 v[101:102], v[152:153], v[148:149]
	;; [unrolled: 1-line block ×4, first 2 shown]
	v_add_f64_e64 v[107:108], v[117:118], -v[119:120]
	v_add_f64_e64 v[109:110], v[152:153], -v[148:149]
	;; [unrolled: 1-line block ×4, first 2 shown]
	v_add_f64_e32 v[115:116], v[142:143], v[166:167]
	v_add_f64_e32 v[117:118], v[188:189], v[140:141]
	;; [unrolled: 1-line block ×4, first 2 shown]
	v_add_f64_e64 v[123:124], v[142:143], -v[166:167]
	v_add_f64_e32 v[142:143], v[194:195], v[174:175]
	v_add_f64_e32 v[144:145], v[198:199], v[170:171]
	;; [unrolled: 1-line block ×4, first 2 shown]
	v_add_f64_e64 v[125:126], v[188:189], -v[140:141]
	v_add_f64_e64 v[138:139], v[162:163], -v[168:169]
	;; [unrolled: 1-line block ×7, first 2 shown]
	global_wb scope:SCOPE_SE
	s_barrier_signal -1
	s_barrier_wait -1
	global_inv scope:SCOPE_SE
	ds_store_b128 v204, v[0:3]
	ds_store_b128 v204, v[48:51] offset:5760
	ds_store_b128 v204, v[52:55] offset:11520
	ds_store_b128 v204, v[4:7] offset:17280
	ds_store_b128 v204, v[56:59] offset:23040
	ds_store_b128 v204, v[60:63] offset:28800
	ds_store_b128 v207, v[8:11]
	ds_store_b128 v207, v[64:67] offset:5760
	ds_store_b128 v207, v[68:71] offset:11520
	ds_store_b128 v207, v[12:15] offset:17280
	ds_store_b128 v207, v[72:75] offset:23040
	ds_store_b128 v207, v[76:79] offset:28800
	;; [unrolled: 6-line block ×4, first 2 shown]
	ds_store_b128 v204, v[115:118] offset:9600
	ds_store_b128 v204, v[40:43] offset:4800
	;; [unrolled: 1-line block ×12, first 2 shown]
	global_wb scope:SCOPE_SE
	s_wait_dscnt 0x0
	s_barrier_signal -1
	s_barrier_wait -1
	global_inv scope:SCOPE_SE
	ds_load_b128 v[4:7], v204
	v_lshlrev_b32_e32 v0, 4, v128
	v_mov_b32_e32 v48, v136
                                        ; implicit-def: $vgpr2_vgpr3
                                        ; implicit-def: $vgpr10_vgpr11
                                        ; implicit-def: $vgpr8_vgpr9
	s_delay_alu instid0(VALU_DEP_2)
	v_sub_nc_u32_e32 v12, 0, v0
	v_cmpx_ne_u32_e32 0, v128
	s_xor_b32 s1, exec_lo, s1
	s_cbranch_execz .LBB0_17
; %bb.16:
	v_mov_b32_e32 v129, v94
	s_delay_alu instid0(VALU_DEP_1) | instskip(NEXT) | instid1(VALU_DEP_1)
	v_lshlrev_b64_e32 v[0:1], 4, v[128:129]
	v_add_co_u32 v0, s0, s8, v0
	s_wait_alu 0xf1ff
	s_delay_alu instid0(VALU_DEP_2)
	v_add_co_ci_u32_e64 v1, s0, s9, v1, s0
	global_load_b128 v[8:11], v[0:1], off offset:34400
	ds_load_b128 v[0:3], v12 offset:34560
	s_wait_dscnt 0x0
	v_add_f64_e64 v[13:14], v[4:5], -v[0:1]
	v_add_f64_e32 v[15:16], v[6:7], v[2:3]
	v_add_f64_e64 v[2:3], v[6:7], -v[2:3]
	v_add_f64_e32 v[0:1], v[4:5], v[0:1]
	s_delay_alu instid0(VALU_DEP_4) | instskip(NEXT) | instid1(VALU_DEP_4)
	v_mul_f64_e32 v[6:7], 0.5, v[13:14]
	v_mul_f64_e32 v[4:5], 0.5, v[15:16]
	s_delay_alu instid0(VALU_DEP_4) | instskip(SKIP_1) | instid1(VALU_DEP_3)
	v_mul_f64_e32 v[2:3], 0.5, v[2:3]
	s_wait_loadcnt 0x0
	v_mul_f64_e32 v[13:14], v[6:7], v[10:11]
	s_delay_alu instid0(VALU_DEP_2) | instskip(SKIP_1) | instid1(VALU_DEP_3)
	v_fma_f64 v[15:16], v[4:5], v[10:11], v[2:3]
	v_fma_f64 v[2:3], v[4:5], v[10:11], -v[2:3]
	v_fma_f64 v[17:18], v[0:1], 0.5, v[13:14]
	v_fma_f64 v[0:1], v[0:1], 0.5, -v[13:14]
	s_delay_alu instid0(VALU_DEP_4) | instskip(NEXT) | instid1(VALU_DEP_4)
	v_fma_f64 v[10:11], -v[8:9], v[6:7], v[15:16]
	v_fma_f64 v[2:3], -v[8:9], v[6:7], v[2:3]
	s_delay_alu instid0(VALU_DEP_4) | instskip(NEXT) | instid1(VALU_DEP_4)
	v_fma_f64 v[13:14], v[4:5], v[8:9], v[17:18]
	v_fma_f64 v[0:1], -v[4:5], v[8:9], v[0:1]
	v_dual_mov_b32 v8, v128 :: v_dual_mov_b32 v9, v129
                                        ; implicit-def: $vgpr4_vgpr5
	ds_store_b64 v204, v[13:14]
.LBB0_17:
	s_wait_alu 0xfffe
	s_and_not1_saveexec_b32 s0, s1
	s_cbranch_execz .LBB0_19
; %bb.18:
	s_wait_dscnt 0x0
	v_add_f64_e32 v[13:14], v[4:5], v[6:7]
	v_add_f64_e64 v[0:1], v[4:5], -v[6:7]
	v_mov_b32_e32 v6, 0
	v_mov_b32_e32 v10, 0
	v_dual_mov_b32 v11, 0 :: v_dual_mov_b32 v8, 0
	s_delay_alu instid0(VALU_DEP_2)
	v_mov_b32_e32 v2, v10
	ds_load_b64 v[4:5], v6 offset:17288
	v_mov_b32_e32 v9, 0
	v_mov_b32_e32 v3, v11
	s_wait_dscnt 0x0
	v_xor_b32_e32 v5, 0x80000000, v5
	ds_store_b64 v204, v[13:14]
	ds_store_b64 v6, v[4:5] offset:17288
.LBB0_19:
	s_wait_alu 0xfffe
	s_or_b32 exec_lo, exec_lo, s0
	v_mov_b32_e32 v131, 0
	s_wait_dscnt 0x0
	s_delay_alu instid0(VALU_DEP_1) | instskip(SKIP_1) | instid1(VALU_DEP_1)
	v_lshlrev_b64_e32 v[4:5], 4, v[130:131]
	v_dual_mov_b32 v138, v131 :: v_dual_mov_b32 v245, v131
	v_lshlrev_b64_e32 v[13:14], 4, v[137:138]
	s_delay_alu instid0(VALU_DEP_3) | instskip(SKIP_1) | instid1(VALU_DEP_4)
	v_add_co_u32 v4, s0, s8, v4
	s_wait_alu 0xf1ff
	v_add_co_ci_u32_e64 v5, s0, s9, v5, s0
	s_delay_alu instid0(VALU_DEP_3)
	v_add_co_u32 v13, s0, s8, v13
	global_load_b128 v[4:7], v[4:5], off offset:34400
	s_wait_alu 0xf1ff
	v_add_co_ci_u32_e64 v14, s0, s9, v14, s0
	global_load_b128 v[13:16], v[13:14], off offset:34400
	ds_store_b64 v204, v[10:11] offset:8
	ds_store_b128 v12, v[0:3] offset:34560
	ds_load_b128 v[0:3], v207
	ds_load_b128 v[17:20], v12 offset:33600
	s_wait_dscnt 0x0
	v_add_f64_e64 v[10:11], v[0:1], -v[17:18]
	v_add_f64_e32 v[21:22], v[2:3], v[19:20]
	v_add_f64_e64 v[2:3], v[2:3], -v[19:20]
	v_add_f64_e32 v[0:1], v[0:1], v[17:18]
	s_delay_alu instid0(VALU_DEP_4) | instskip(NEXT) | instid1(VALU_DEP_4)
	v_mul_f64_e32 v[10:11], 0.5, v[10:11]
	v_mul_f64_e32 v[19:20], 0.5, v[21:22]
	s_delay_alu instid0(VALU_DEP_4) | instskip(SKIP_1) | instid1(VALU_DEP_3)
	v_mul_f64_e32 v[2:3], 0.5, v[2:3]
	s_wait_loadcnt 0x1
	v_mul_f64_e32 v[17:18], v[10:11], v[6:7]
	s_delay_alu instid0(VALU_DEP_2) | instskip(SKIP_1) | instid1(VALU_DEP_3)
	v_fma_f64 v[21:22], v[19:20], v[6:7], v[2:3]
	v_fma_f64 v[6:7], v[19:20], v[6:7], -v[2:3]
	v_fma_f64 v[23:24], v[0:1], 0.5, v[17:18]
	v_fma_f64 v[17:18], v[0:1], 0.5, -v[17:18]
	s_delay_alu instid0(VALU_DEP_4) | instskip(NEXT) | instid1(VALU_DEP_4)
	v_fma_f64 v[2:3], -v[4:5], v[10:11], v[21:22]
	v_fma_f64 v[6:7], -v[4:5], v[10:11], v[6:7]
	v_lshlrev_b64_e32 v[10:11], 4, v[244:245]
	s_delay_alu instid0(VALU_DEP_1) | instskip(SKIP_1) | instid1(VALU_DEP_2)
	v_add_co_u32 v10, s0, s8, v10
	s_wait_alu 0xf1ff
	v_add_co_ci_u32_e64 v11, s0, s9, v11, s0
	s_add_nc_u64 s[0:1], s[8:9], 0x8660
	v_fma_f64 v[0:1], v[19:20], v[4:5], v[23:24]
	v_fma_f64 v[4:5], -v[19:20], v[4:5], v[17:18]
	global_load_b128 v[17:20], v[10:11], off offset:34400
	ds_store_b128 v207, v[0:3]
	ds_store_b128 v12, v[4:7] offset:33600
	ds_load_b128 v[0:3], v48
	ds_load_b128 v[4:7], v12 offset:32640
	s_wait_dscnt 0x0
	v_add_f64_e64 v[10:11], v[0:1], -v[4:5]
	v_add_f64_e32 v[21:22], v[2:3], v[6:7]
	v_add_f64_e64 v[2:3], v[2:3], -v[6:7]
	v_add_f64_e32 v[0:1], v[0:1], v[4:5]
	s_delay_alu instid0(VALU_DEP_4) | instskip(NEXT) | instid1(VALU_DEP_4)
	v_mul_f64_e32 v[6:7], 0.5, v[10:11]
	v_mul_f64_e32 v[10:11], 0.5, v[21:22]
	s_delay_alu instid0(VALU_DEP_4) | instskip(SKIP_1) | instid1(VALU_DEP_3)
	v_mul_f64_e32 v[2:3], 0.5, v[2:3]
	s_wait_loadcnt 0x1
	v_mul_f64_e32 v[4:5], v[6:7], v[15:16]
	s_delay_alu instid0(VALU_DEP_2) | instskip(SKIP_1) | instid1(VALU_DEP_3)
	v_fma_f64 v[21:22], v[10:11], v[15:16], v[2:3]
	v_fma_f64 v[2:3], v[10:11], v[15:16], -v[2:3]
	v_fma_f64 v[23:24], v[0:1], 0.5, v[4:5]
	v_fma_f64 v[0:1], v[0:1], 0.5, -v[4:5]
	s_delay_alu instid0(VALU_DEP_4) | instskip(NEXT) | instid1(VALU_DEP_4)
	v_fma_f64 v[4:5], -v[13:14], v[6:7], v[21:22]
	v_fma_f64 v[15:16], -v[13:14], v[6:7], v[2:3]
	s_delay_alu instid0(VALU_DEP_4) | instskip(NEXT) | instid1(VALU_DEP_4)
	v_fma_f64 v[2:3], v[10:11], v[13:14], v[23:24]
	v_fma_f64 v[13:14], -v[10:11], v[13:14], v[0:1]
	v_lshlrev_b64_e32 v[0:1], 4, v[8:9]
	s_wait_alu 0xfffe
	s_delay_alu instid0(VALU_DEP_1) | instskip(SKIP_1) | instid1(VALU_DEP_2)
	v_add_co_u32 v0, s0, s0, v0
	s_wait_alu 0xf1ff
	v_add_co_ci_u32_e64 v1, s0, s1, v1, s0
	global_load_b128 v[6:9], v[0:1], off offset:3840
	ds_store_b128 v48, v[2:5]
	ds_store_b128 v12, v[13:16] offset:32640
	ds_load_b128 v[2:5], v255
	ds_load_b128 v[13:16], v12 offset:31680
	s_wait_dscnt 0x0
	v_add_f64_e64 v[10:11], v[2:3], -v[13:14]
	v_add_f64_e32 v[21:22], v[4:5], v[15:16]
	v_add_f64_e64 v[4:5], v[4:5], -v[15:16]
	v_add_f64_e32 v[2:3], v[2:3], v[13:14]
	s_delay_alu instid0(VALU_DEP_4) | instskip(NEXT) | instid1(VALU_DEP_4)
	v_mul_f64_e32 v[10:11], 0.5, v[10:11]
	v_mul_f64_e32 v[21:22], 0.5, v[21:22]
	s_delay_alu instid0(VALU_DEP_4) | instskip(SKIP_1) | instid1(VALU_DEP_3)
	v_mul_f64_e32 v[4:5], 0.5, v[4:5]
	s_wait_loadcnt 0x1
	v_mul_f64_e32 v[13:14], v[10:11], v[19:20]
	s_delay_alu instid0(VALU_DEP_2) | instskip(SKIP_1) | instid1(VALU_DEP_3)
	v_fma_f64 v[15:16], v[21:22], v[19:20], v[4:5]
	v_fma_f64 v[19:20], v[21:22], v[19:20], -v[4:5]
	v_fma_f64 v[23:24], v[2:3], 0.5, v[13:14]
	v_fma_f64 v[13:14], v[2:3], 0.5, -v[13:14]
	s_delay_alu instid0(VALU_DEP_4) | instskip(NEXT) | instid1(VALU_DEP_4)
	v_fma_f64 v[4:5], -v[17:18], v[10:11], v[15:16]
	v_fma_f64 v[15:16], -v[17:18], v[10:11], v[19:20]
	s_delay_alu instid0(VALU_DEP_4) | instskip(NEXT) | instid1(VALU_DEP_4)
	v_fma_f64 v[2:3], v[21:22], v[17:18], v[23:24]
	v_fma_f64 v[13:14], -v[21:22], v[17:18], v[13:14]
	global_load_b128 v[17:20], v[0:1], off offset:4800
	ds_store_b128 v255, v[2:5]
	ds_store_b128 v12, v[13:16] offset:31680
	ds_load_b128 v[2:5], v204 offset:3840
	ds_load_b128 v[13:16], v12 offset:30720
	s_wait_dscnt 0x0
	v_add_f64_e64 v[10:11], v[2:3], -v[13:14]
	v_add_f64_e32 v[21:22], v[4:5], v[15:16]
	v_add_f64_e64 v[4:5], v[4:5], -v[15:16]
	v_add_f64_e32 v[2:3], v[2:3], v[13:14]
	s_delay_alu instid0(VALU_DEP_4) | instskip(NEXT) | instid1(VALU_DEP_4)
	v_mul_f64_e32 v[10:11], 0.5, v[10:11]
	v_mul_f64_e32 v[15:16], 0.5, v[21:22]
	s_delay_alu instid0(VALU_DEP_4) | instskip(SKIP_1) | instid1(VALU_DEP_3)
	v_mul_f64_e32 v[4:5], 0.5, v[4:5]
	s_wait_loadcnt 0x1
	v_mul_f64_e32 v[13:14], v[10:11], v[8:9]
	s_delay_alu instid0(VALU_DEP_2) | instskip(SKIP_1) | instid1(VALU_DEP_3)
	v_fma_f64 v[21:22], v[15:16], v[8:9], v[4:5]
	v_fma_f64 v[8:9], v[15:16], v[8:9], -v[4:5]
	v_fma_f64 v[23:24], v[2:3], 0.5, v[13:14]
	v_fma_f64 v[13:14], v[2:3], 0.5, -v[13:14]
	s_delay_alu instid0(VALU_DEP_4) | instskip(NEXT) | instid1(VALU_DEP_4)
	v_fma_f64 v[4:5], -v[6:7], v[10:11], v[21:22]
	v_fma_f64 v[8:9], -v[6:7], v[10:11], v[8:9]
	s_delay_alu instid0(VALU_DEP_4) | instskip(NEXT) | instid1(VALU_DEP_4)
	v_fma_f64 v[2:3], v[15:16], v[6:7], v[23:24]
	v_fma_f64 v[6:7], -v[15:16], v[6:7], v[13:14]
	global_load_b128 v[13:16], v[0:1], off offset:5760
	ds_store_b128 v204, v[2:5] offset:3840
	ds_store_b128 v12, v[6:9] offset:30720
	ds_load_b128 v[2:5], v204 offset:4800
	ds_load_b128 v[6:9], v12 offset:29760
	s_wait_dscnt 0x0
	v_add_f64_e64 v[10:11], v[2:3], -v[6:7]
	v_add_f64_e32 v[21:22], v[4:5], v[8:9]
	v_add_f64_e64 v[4:5], v[4:5], -v[8:9]
	v_add_f64_e32 v[2:3], v[2:3], v[6:7]
	s_delay_alu instid0(VALU_DEP_4) | instskip(NEXT) | instid1(VALU_DEP_4)
	v_mul_f64_e32 v[8:9], 0.5, v[10:11]
	v_mul_f64_e32 v[10:11], 0.5, v[21:22]
	s_delay_alu instid0(VALU_DEP_4) | instskip(SKIP_1) | instid1(VALU_DEP_3)
	v_mul_f64_e32 v[4:5], 0.5, v[4:5]
	s_wait_loadcnt 0x1
	v_mul_f64_e32 v[6:7], v[8:9], v[19:20]
	s_delay_alu instid0(VALU_DEP_2) | instskip(SKIP_1) | instid1(VALU_DEP_3)
	v_fma_f64 v[21:22], v[10:11], v[19:20], v[4:5]
	v_fma_f64 v[19:20], v[10:11], v[19:20], -v[4:5]
	v_fma_f64 v[23:24], v[2:3], 0.5, v[6:7]
	v_fma_f64 v[6:7], v[2:3], 0.5, -v[6:7]
	s_delay_alu instid0(VALU_DEP_4) | instskip(NEXT) | instid1(VALU_DEP_4)
	v_fma_f64 v[4:5], -v[17:18], v[8:9], v[21:22]
	v_fma_f64 v[8:9], -v[17:18], v[8:9], v[19:20]
	s_delay_alu instid0(VALU_DEP_4) | instskip(NEXT) | instid1(VALU_DEP_4)
	v_fma_f64 v[2:3], v[10:11], v[17:18], v[23:24]
	v_fma_f64 v[6:7], -v[10:11], v[17:18], v[6:7]
	global_load_b128 v[17:20], v[0:1], off offset:6720
	ds_store_b128 v204, v[2:5] offset:4800
	;; [unrolled: 28-line block ×12, first 2 shown]
	ds_store_b128 v12, v[6:9] offset:20160
	ds_load_b128 v[0:3], v204 offset:15360
	ds_load_b128 v[4:7], v12 offset:19200
	s_wait_dscnt 0x0
	v_add_f64_e64 v[8:9], v[0:1], -v[4:5]
	v_add_f64_e32 v[10:11], v[2:3], v[6:7]
	v_add_f64_e64 v[2:3], v[2:3], -v[6:7]
	v_add_f64_e32 v[0:1], v[0:1], v[4:5]
	s_delay_alu instid0(VALU_DEP_4) | instskip(NEXT) | instid1(VALU_DEP_4)
	v_mul_f64_e32 v[6:7], 0.5, v[8:9]
	v_mul_f64_e32 v[8:9], 0.5, v[10:11]
	s_delay_alu instid0(VALU_DEP_4) | instskip(SKIP_1) | instid1(VALU_DEP_3)
	v_mul_f64_e32 v[2:3], 0.5, v[2:3]
	s_wait_loadcnt 0x1
	v_mul_f64_e32 v[4:5], v[6:7], v[15:16]
	s_delay_alu instid0(VALU_DEP_2) | instskip(SKIP_1) | instid1(VALU_DEP_3)
	v_fma_f64 v[10:11], v[8:9], v[15:16], v[2:3]
	v_fma_f64 v[15:16], v[8:9], v[15:16], -v[2:3]
	v_fma_f64 v[21:22], v[0:1], 0.5, v[4:5]
	v_fma_f64 v[4:5], v[0:1], 0.5, -v[4:5]
	s_delay_alu instid0(VALU_DEP_4) | instskip(NEXT) | instid1(VALU_DEP_4)
	v_fma_f64 v[2:3], -v[13:14], v[6:7], v[10:11]
	v_fma_f64 v[6:7], -v[13:14], v[6:7], v[15:16]
	s_delay_alu instid0(VALU_DEP_4) | instskip(NEXT) | instid1(VALU_DEP_4)
	v_fma_f64 v[0:1], v[8:9], v[13:14], v[21:22]
	v_fma_f64 v[4:5], -v[8:9], v[13:14], v[4:5]
	ds_store_b128 v204, v[0:3] offset:15360
	ds_store_b128 v12, v[4:7] offset:19200
	ds_load_b128 v[0:3], v204 offset:16320
	ds_load_b128 v[4:7], v12 offset:18240
	s_wait_dscnt 0x0
	v_add_f64_e64 v[8:9], v[0:1], -v[4:5]
	v_add_f64_e32 v[10:11], v[2:3], v[6:7]
	v_add_f64_e64 v[2:3], v[2:3], -v[6:7]
	v_add_f64_e32 v[0:1], v[0:1], v[4:5]
	s_delay_alu instid0(VALU_DEP_4) | instskip(NEXT) | instid1(VALU_DEP_4)
	v_mul_f64_e32 v[6:7], 0.5, v[8:9]
	v_mul_f64_e32 v[8:9], 0.5, v[10:11]
	s_delay_alu instid0(VALU_DEP_4) | instskip(SKIP_1) | instid1(VALU_DEP_3)
	v_mul_f64_e32 v[2:3], 0.5, v[2:3]
	s_wait_loadcnt 0x0
	v_mul_f64_e32 v[4:5], v[6:7], v[19:20]
	s_delay_alu instid0(VALU_DEP_2) | instskip(SKIP_1) | instid1(VALU_DEP_3)
	v_fma_f64 v[10:11], v[8:9], v[19:20], v[2:3]
	v_fma_f64 v[13:14], v[8:9], v[19:20], -v[2:3]
	v_fma_f64 v[15:16], v[0:1], 0.5, v[4:5]
	v_fma_f64 v[4:5], v[0:1], 0.5, -v[4:5]
	s_delay_alu instid0(VALU_DEP_4) | instskip(NEXT) | instid1(VALU_DEP_4)
	v_fma_f64 v[2:3], -v[17:18], v[6:7], v[10:11]
	v_fma_f64 v[6:7], -v[17:18], v[6:7], v[13:14]
	s_delay_alu instid0(VALU_DEP_4) | instskip(NEXT) | instid1(VALU_DEP_4)
	v_fma_f64 v[0:1], v[8:9], v[17:18], v[15:16]
	v_fma_f64 v[4:5], -v[8:9], v[17:18], v[4:5]
	ds_store_b128 v204, v[0:3] offset:16320
	ds_store_b128 v12, v[4:7] offset:18240
	global_wb scope:SCOPE_SE
	s_wait_dscnt 0x0
	s_barrier_signal -1
	s_barrier_wait -1
	global_inv scope:SCOPE_SE
	s_and_saveexec_b32 s0, vcc_lo
	s_cbranch_execz .LBB0_22
; %bb.20:
	v_mul_lo_u32 v3, s3, v134
	v_mul_lo_u32 v4, s2, v135
	v_mad_co_u64_u32 v[0:1], null, s2, v134, 0
	v_dual_mov_b32 v129, v131 :: v_dual_add_nc_u32 v130, 60, v128
	v_lshlrev_b64_e32 v[15:16], 4, v[132:133]
	v_lshl_add_u32 v2, v128, 4, 0
	s_delay_alu instid0(VALU_DEP_3)
	v_lshlrev_b64_e32 v[17:18], 4, v[128:129]
	v_add3_u32 v1, v1, v4, v3
	v_lshlrev_b64_e32 v[19:20], 4, v[130:131]
	v_add_nc_u32_e32 v130, 0x78, v128
	ds_load_b128 v[3:6], v2
	ds_load_b128 v[7:10], v2 offset:960
	ds_load_b128 v[11:14], v2 offset:1920
	v_lshlrev_b64_e32 v[0:1], 4, v[0:1]
	v_lshlrev_b64_e32 v[21:22], 4, v[130:131]
	v_add_nc_u32_e32 v130, 0xb4, v128
	s_delay_alu instid0(VALU_DEP_3) | instskip(SKIP_1) | instid1(VALU_DEP_4)
	v_add_co_u32 v0, vcc_lo, s6, v0
	s_wait_alu 0xfffd
	v_add_co_ci_u32_e32 v1, vcc_lo, s7, v1, vcc_lo
	s_delay_alu instid0(VALU_DEP_2) | instskip(SKIP_1) | instid1(VALU_DEP_2)
	v_add_co_u32 v0, vcc_lo, v0, v15
	s_wait_alu 0xfffd
	v_add_co_ci_u32_e32 v1, vcc_lo, v1, v16, vcc_lo
	s_delay_alu instid0(VALU_DEP_2) | instskip(SKIP_1) | instid1(VALU_DEP_2)
	v_add_co_u32 v23, vcc_lo, v0, v17
	s_wait_alu 0xfffd
	v_add_co_ci_u32_e32 v24, vcc_lo, v1, v18, vcc_lo
	ds_load_b128 v[15:18], v2 offset:2880
	v_add_co_u32 v25, vcc_lo, v0, v19
	s_wait_alu 0xfffd
	v_add_co_ci_u32_e32 v26, vcc_lo, v1, v20, vcc_lo
	v_lshlrev_b64_e32 v[19:20], 4, v[130:131]
	v_add_nc_u32_e32 v130, 0xf0, v128
	v_add_co_u32 v27, vcc_lo, v0, v21
	s_wait_alu 0xfffd
	v_add_co_ci_u32_e32 v28, vcc_lo, v1, v22, vcc_lo
	s_delay_alu instid0(VALU_DEP_4)
	v_add_co_u32 v29, vcc_lo, v0, v19
	v_lshlrev_b64_e32 v[31:32], 4, v[130:131]
	v_add_nc_u32_e32 v130, 0x12c, v128
	s_wait_alu 0xfffd
	v_add_co_ci_u32_e32 v30, vcc_lo, v1, v20, vcc_lo
	ds_load_b128 v[19:22], v2 offset:33600
	s_wait_dscnt 0x4
	global_store_b128 v[23:24], v[3:6], off
	s_wait_dscnt 0x3
	global_store_b128 v[25:26], v[7:10], off
	v_lshlrev_b64_e32 v[23:24], 4, v[130:131]
	v_add_nc_u32_e32 v130, 0x168, v128
	ds_load_b128 v[3:6], v2 offset:3840
	s_wait_dscnt 0x3
	global_store_b128 v[27:28], v[11:14], off
	s_wait_dscnt 0x2
	global_store_b128 v[29:30], v[15:18], off
	ds_load_b128 v[7:10], v2 offset:4800
	ds_load_b128 v[11:14], v2 offset:5760
	ds_load_b128 v[15:18], v2 offset:6720
	v_lshlrev_b64_e32 v[27:28], 4, v[130:131]
	v_add_nc_u32_e32 v130, 0x1a4, v128
	v_add_co_u32 v25, vcc_lo, v0, v31
	s_wait_alu 0xfffd
	v_add_co_ci_u32_e32 v26, vcc_lo, v1, v32, vcc_lo
	v_add_co_u32 v23, vcc_lo, v0, v23
	v_lshlrev_b64_e32 v[29:30], 4, v[130:131]
	v_add_nc_u32_e32 v130, 0x1e0, v128
	s_wait_alu 0xfffd
	v_add_co_ci_u32_e32 v24, vcc_lo, v1, v24, vcc_lo
	v_add_co_u32 v27, vcc_lo, v0, v27
	s_wait_alu 0xfffd
	v_add_co_ci_u32_e32 v28, vcc_lo, v1, v28, vcc_lo
	v_add_co_u32 v29, vcc_lo, v0, v29
	v_lshlrev_b64_e32 v[31:32], 4, v[130:131]
	v_add_nc_u32_e32 v130, 0x21c, v128
	s_wait_alu 0xfffd
	v_add_co_ci_u32_e32 v30, vcc_lo, v1, v30, vcc_lo
	s_wait_dscnt 0x3
	global_store_b128 v[25:26], v[3:6], off
	s_wait_dscnt 0x2
	global_store_b128 v[23:24], v[7:10], off
	ds_load_b128 v[3:6], v2 offset:7680
	v_lshlrev_b64_e32 v[23:24], 4, v[130:131]
	v_add_nc_u32_e32 v130, 0x258, v128
	s_wait_dscnt 0x2
	global_store_b128 v[27:28], v[11:14], off
	s_wait_dscnt 0x1
	global_store_b128 v[29:30], v[15:18], off
	ds_load_b128 v[7:10], v2 offset:8640
	ds_load_b128 v[11:14], v2 offset:9600
	ds_load_b128 v[15:18], v2 offset:10560
	v_add_co_u32 v25, vcc_lo, v0, v31
	v_lshlrev_b64_e32 v[27:28], 4, v[130:131]
	v_add_nc_u32_e32 v130, 0x294, v128
	s_wait_alu 0xfffd
	v_add_co_ci_u32_e32 v26, vcc_lo, v1, v32, vcc_lo
	v_add_co_u32 v23, vcc_lo, v0, v23
	s_delay_alu instid0(VALU_DEP_3)
	v_lshlrev_b64_e32 v[29:30], 4, v[130:131]
	v_add_nc_u32_e32 v130, 0x2d0, v128
	s_wait_alu 0xfffd
	v_add_co_ci_u32_e32 v24, vcc_lo, v1, v24, vcc_lo
	v_add_co_u32 v27, vcc_lo, v0, v27
	s_wait_alu 0xfffd
	v_add_co_ci_u32_e32 v28, vcc_lo, v1, v28, vcc_lo
	v_add_co_u32 v29, vcc_lo, v0, v29
	v_lshlrev_b64_e32 v[31:32], 4, v[130:131]
	v_add_nc_u32_e32 v130, 0x30c, v128
	s_wait_alu 0xfffd
	v_add_co_ci_u32_e32 v30, vcc_lo, v1, v30, vcc_lo
	s_wait_dscnt 0x3
	global_store_b128 v[25:26], v[3:6], off
	s_wait_dscnt 0x2
	global_store_b128 v[23:24], v[7:10], off
	ds_load_b128 v[3:6], v2 offset:11520
	v_lshlrev_b64_e32 v[23:24], 4, v[130:131]
	v_add_nc_u32_e32 v130, 0x348, v128
	s_wait_dscnt 0x2
	global_store_b128 v[27:28], v[11:14], off
	s_wait_dscnt 0x1
	global_store_b128 v[29:30], v[15:18], off
	ds_load_b128 v[7:10], v2 offset:12480
	ds_load_b128 v[11:14], v2 offset:13440
	ds_load_b128 v[15:18], v2 offset:14400
	v_add_co_u32 v25, vcc_lo, v0, v31
	v_lshlrev_b64_e32 v[27:28], 4, v[130:131]
	v_add_nc_u32_e32 v130, 0x384, v128
	s_wait_alu 0xfffd
	v_add_co_ci_u32_e32 v26, vcc_lo, v1, v32, vcc_lo
	v_add_co_u32 v23, vcc_lo, v0, v23
	s_delay_alu instid0(VALU_DEP_3)
	;; [unrolled: 33-line block ×6, first 2 shown]
	v_lshlrev_b64_e32 v[29:30], 4, v[130:131]
	s_wait_alu 0xfffd
	v_add_co_ci_u32_e32 v24, vcc_lo, v1, v24, vcc_lo
	v_add_nc_u32_e32 v130, 0x780, v128
	v_add_co_u32 v27, vcc_lo, v0, v27
	s_wait_alu 0xfffd
	v_add_co_ci_u32_e32 v28, vcc_lo, v1, v28, vcc_lo
	v_add_co_u32 v29, vcc_lo, v0, v29
	v_lshlrev_b64_e32 v[31:32], 4, v[130:131]
	v_add_nc_u32_e32 v130, 0x7bc, v128
	s_wait_alu 0xfffd
	v_add_co_ci_u32_e32 v30, vcc_lo, v1, v30, vcc_lo
	s_wait_dscnt 0x3
	global_store_b128 v[25:26], v[3:6], off
	s_wait_dscnt 0x2
	global_store_b128 v[23:24], v[7:10], off
	ds_load_b128 v[3:6], v2 offset:30720
	s_wait_dscnt 0x2
	global_store_b128 v[27:28], v[11:14], off
	s_wait_dscnt 0x1
	global_store_b128 v[29:30], v[15:18], off
	v_lshlrev_b64_e32 v[15:16], 4, v[130:131]
	v_add_nc_u32_e32 v130, 0x7f8, v128
	ds_load_b128 v[7:10], v2 offset:31680
	ds_load_b128 v[11:14], v2 offset:32640
	v_add_co_u32 v17, vcc_lo, v0, v31
	s_wait_alu 0xfffd
	v_add_co_ci_u32_e32 v18, vcc_lo, v1, v32, vcc_lo
	v_lshlrev_b64_e32 v[23:24], 4, v[130:131]
	v_add_nc_u32_e32 v130, 0x834, v128
	v_add_co_u32 v15, vcc_lo, v0, v15
	s_wait_alu 0xfffd
	v_add_co_ci_u32_e32 v16, vcc_lo, v1, v16, vcc_lo
	s_delay_alu instid0(VALU_DEP_3) | instskip(SKIP_3) | instid1(VALU_DEP_3)
	v_lshlrev_b64_e32 v[25:26], 4, v[130:131]
	v_add_co_u32 v23, vcc_lo, v0, v23
	s_wait_alu 0xfffd
	v_add_co_ci_u32_e32 v24, vcc_lo, v1, v24, vcc_lo
	v_add_co_u32 v25, vcc_lo, v0, v25
	s_wait_alu 0xfffd
	v_add_co_ci_u32_e32 v26, vcc_lo, v1, v26, vcc_lo
	v_cmp_eq_u32_e32 vcc_lo, 59, v128
	s_wait_dscnt 0x2
	global_store_b128 v[17:18], v[3:6], off
	s_wait_dscnt 0x1
	global_store_b128 v[15:16], v[7:10], off
	s_wait_dscnt 0x0
	s_clause 0x1
	global_store_b128 v[23:24], v[11:14], off
	global_store_b128 v[25:26], v[19:22], off
	s_and_b32 exec_lo, exec_lo, vcc_lo
	s_cbranch_execz .LBB0_22
; %bb.21:
	v_mov_b32_e32 v2, 0
	ds_load_b128 v[2:5], v2 offset:34560
	s_wait_dscnt 0x0
	global_store_b128 v[0:1], v[2:5], off offset:34560
.LBB0_22:
	s_nop 0
	s_sendmsg sendmsg(MSG_DEALLOC_VGPRS)
	s_endpgm
	.section	.rodata,"a",@progbits
	.p2align	6, 0x0
	.amdhsa_kernel fft_rtc_back_len2160_factors_10_6_6_6_wgs_60_tpt_60_halfLds_dp_op_CI_CI_unitstride_sbrr_R2C_dirReg
		.amdhsa_group_segment_fixed_size 0
		.amdhsa_private_segment_fixed_size 0
		.amdhsa_kernarg_size 104
		.amdhsa_user_sgpr_count 2
		.amdhsa_user_sgpr_dispatch_ptr 0
		.amdhsa_user_sgpr_queue_ptr 0
		.amdhsa_user_sgpr_kernarg_segment_ptr 1
		.amdhsa_user_sgpr_dispatch_id 0
		.amdhsa_user_sgpr_private_segment_size 0
		.amdhsa_wavefront_size32 1
		.amdhsa_uses_dynamic_stack 0
		.amdhsa_enable_private_segment 0
		.amdhsa_system_sgpr_workgroup_id_x 1
		.amdhsa_system_sgpr_workgroup_id_y 0
		.amdhsa_system_sgpr_workgroup_id_z 0
		.amdhsa_system_sgpr_workgroup_info 0
		.amdhsa_system_vgpr_workitem_id 0
		.amdhsa_next_free_vgpr 256
		.amdhsa_next_free_sgpr 39
		.amdhsa_reserve_vcc 1
		.amdhsa_float_round_mode_32 0
		.amdhsa_float_round_mode_16_64 0
		.amdhsa_float_denorm_mode_32 3
		.amdhsa_float_denorm_mode_16_64 3
		.amdhsa_fp16_overflow 0
		.amdhsa_workgroup_processor_mode 1
		.amdhsa_memory_ordered 1
		.amdhsa_forward_progress 0
		.amdhsa_round_robin_scheduling 0
		.amdhsa_exception_fp_ieee_invalid_op 0
		.amdhsa_exception_fp_denorm_src 0
		.amdhsa_exception_fp_ieee_div_zero 0
		.amdhsa_exception_fp_ieee_overflow 0
		.amdhsa_exception_fp_ieee_underflow 0
		.amdhsa_exception_fp_ieee_inexact 0
		.amdhsa_exception_int_div_zero 0
	.end_amdhsa_kernel
	.text
.Lfunc_end0:
	.size	fft_rtc_back_len2160_factors_10_6_6_6_wgs_60_tpt_60_halfLds_dp_op_CI_CI_unitstride_sbrr_R2C_dirReg, .Lfunc_end0-fft_rtc_back_len2160_factors_10_6_6_6_wgs_60_tpt_60_halfLds_dp_op_CI_CI_unitstride_sbrr_R2C_dirReg
                                        ; -- End function
	.section	.AMDGPU.csdata,"",@progbits
; Kernel info:
; codeLenInByte = 24824
; NumSgprs: 41
; NumVgprs: 256
; ScratchSize: 0
; MemoryBound: 0
; FloatMode: 240
; IeeeMode: 1
; LDSByteSize: 0 bytes/workgroup (compile time only)
; SGPRBlocks: 5
; VGPRBlocks: 31
; NumSGPRsForWavesPerEU: 41
; NumVGPRsForWavesPerEU: 256
; Occupancy: 5
; WaveLimiterHint : 1
; COMPUTE_PGM_RSRC2:SCRATCH_EN: 0
; COMPUTE_PGM_RSRC2:USER_SGPR: 2
; COMPUTE_PGM_RSRC2:TRAP_HANDLER: 0
; COMPUTE_PGM_RSRC2:TGID_X_EN: 1
; COMPUTE_PGM_RSRC2:TGID_Y_EN: 0
; COMPUTE_PGM_RSRC2:TGID_Z_EN: 0
; COMPUTE_PGM_RSRC2:TIDIG_COMP_CNT: 0
	.text
	.p2alignl 7, 3214868480
	.fill 96, 4, 3214868480
	.type	__hip_cuid_6ea0b9731a3a2885,@object ; @__hip_cuid_6ea0b9731a3a2885
	.section	.bss,"aw",@nobits
	.globl	__hip_cuid_6ea0b9731a3a2885
__hip_cuid_6ea0b9731a3a2885:
	.byte	0                               ; 0x0
	.size	__hip_cuid_6ea0b9731a3a2885, 1

	.ident	"AMD clang version 19.0.0git (https://github.com/RadeonOpenCompute/llvm-project roc-6.4.0 25133 c7fe45cf4b819c5991fe208aaa96edf142730f1d)"
	.section	".note.GNU-stack","",@progbits
	.addrsig
	.addrsig_sym __hip_cuid_6ea0b9731a3a2885
	.amdgpu_metadata
---
amdhsa.kernels:
  - .args:
      - .actual_access:  read_only
        .address_space:  global
        .offset:         0
        .size:           8
        .value_kind:     global_buffer
      - .offset:         8
        .size:           8
        .value_kind:     by_value
      - .actual_access:  read_only
        .address_space:  global
        .offset:         16
        .size:           8
        .value_kind:     global_buffer
      - .actual_access:  read_only
        .address_space:  global
        .offset:         24
        .size:           8
        .value_kind:     global_buffer
      - .actual_access:  read_only
        .address_space:  global
        .offset:         32
        .size:           8
        .value_kind:     global_buffer
      - .offset:         40
        .size:           8
        .value_kind:     by_value
      - .actual_access:  read_only
        .address_space:  global
        .offset:         48
        .size:           8
        .value_kind:     global_buffer
      - .actual_access:  read_only
        .address_space:  global
        .offset:         56
        .size:           8
        .value_kind:     global_buffer
      - .offset:         64
        .size:           4
        .value_kind:     by_value
      - .actual_access:  read_only
        .address_space:  global
        .offset:         72
        .size:           8
        .value_kind:     global_buffer
      - .actual_access:  read_only
        .address_space:  global
        .offset:         80
        .size:           8
        .value_kind:     global_buffer
      - .actual_access:  read_only
        .address_space:  global
        .offset:         88
        .size:           8
        .value_kind:     global_buffer
      - .actual_access:  write_only
        .address_space:  global
        .offset:         96
        .size:           8
        .value_kind:     global_buffer
    .group_segment_fixed_size: 0
    .kernarg_segment_align: 8
    .kernarg_segment_size: 104
    .language:       OpenCL C
    .language_version:
      - 2
      - 0
    .max_flat_workgroup_size: 60
    .name:           fft_rtc_back_len2160_factors_10_6_6_6_wgs_60_tpt_60_halfLds_dp_op_CI_CI_unitstride_sbrr_R2C_dirReg
    .private_segment_fixed_size: 0
    .sgpr_count:     41
    .sgpr_spill_count: 0
    .symbol:         fft_rtc_back_len2160_factors_10_6_6_6_wgs_60_tpt_60_halfLds_dp_op_CI_CI_unitstride_sbrr_R2C_dirReg.kd
    .uniform_work_group_size: 1
    .uses_dynamic_stack: false
    .vgpr_count:     256
    .vgpr_spill_count: 0
    .wavefront_size: 32
    .workgroup_processor_mode: 1
amdhsa.target:   amdgcn-amd-amdhsa--gfx1201
amdhsa.version:
  - 1
  - 2
...

	.end_amdgpu_metadata
